;; amdgpu-corpus repo=ROCm/rocFFT kind=compiled arch=gfx1201 opt=O3
	.text
	.amdgcn_target "amdgcn-amd-amdhsa--gfx1201"
	.amdhsa_code_object_version 6
	.protected	fft_rtc_back_len2880_factors_10_6_6_2_2_2_wgs_96_tpt_96_halfLds_sp_ip_CI_unitstride_sbrr_dirReg ; -- Begin function fft_rtc_back_len2880_factors_10_6_6_2_2_2_wgs_96_tpt_96_halfLds_sp_ip_CI_unitstride_sbrr_dirReg
	.globl	fft_rtc_back_len2880_factors_10_6_6_2_2_2_wgs_96_tpt_96_halfLds_sp_ip_CI_unitstride_sbrr_dirReg
	.p2align	8
	.type	fft_rtc_back_len2880_factors_10_6_6_2_2_2_wgs_96_tpt_96_halfLds_sp_ip_CI_unitstride_sbrr_dirReg,@function
fft_rtc_back_len2880_factors_10_6_6_2_2_2_wgs_96_tpt_96_halfLds_sp_ip_CI_unitstride_sbrr_dirReg: ; @fft_rtc_back_len2880_factors_10_6_6_2_2_2_wgs_96_tpt_96_halfLds_sp_ip_CI_unitstride_sbrr_dirReg
; %bb.0:
	s_clause 0x2
	s_load_b128 s[4:7], s[0:1], 0x0
	s_load_b64 s[8:9], s[0:1], 0x50
	s_load_b64 s[10:11], s[0:1], 0x18
	v_mul_u32_u24_e32 v1, 0x2ab, v0
	v_mov_b32_e32 v3, 0
	s_delay_alu instid0(VALU_DEP_2) | instskip(NEXT) | instid1(VALU_DEP_1)
	v_lshrrev_b32_e32 v1, 16, v1
	v_add_nc_u32_e32 v5, ttmp9, v1
	v_mov_b32_e32 v1, 0
	v_mov_b32_e32 v2, 0
	;; [unrolled: 1-line block ×3, first 2 shown]
	s_wait_kmcnt 0x0
	v_cmp_lt_u64_e64 s2, s[6:7], 2
	s_delay_alu instid0(VALU_DEP_1)
	s_and_b32 vcc_lo, exec_lo, s2
	s_cbranch_vccnz .LBB0_8
; %bb.1:
	s_load_b64 s[2:3], s[0:1], 0x10
	v_mov_b32_e32 v1, 0
	v_mov_b32_e32 v2, 0
	s_add_nc_u64 s[12:13], s[10:11], 8
	s_mov_b64 s[14:15], 1
	s_wait_kmcnt 0x0
	s_add_nc_u64 s[16:17], s[2:3], 8
	s_mov_b32 s3, 0
.LBB0_2:                                ; =>This Inner Loop Header: Depth=1
	s_load_b64 s[18:19], s[16:17], 0x0
                                        ; implicit-def: $vgpr8_vgpr9
	s_mov_b32 s2, exec_lo
	s_wait_kmcnt 0x0
	v_or_b32_e32 v4, s19, v6
	s_delay_alu instid0(VALU_DEP_1)
	v_cmpx_ne_u64_e32 0, v[3:4]
	s_wait_alu 0xfffe
	s_xor_b32 s20, exec_lo, s2
	s_cbranch_execz .LBB0_4
; %bb.3:                                ;   in Loop: Header=BB0_2 Depth=1
	s_cvt_f32_u32 s2, s18
	s_cvt_f32_u32 s21, s19
	s_sub_nc_u64 s[24:25], 0, s[18:19]
	s_wait_alu 0xfffe
	s_delay_alu instid0(SALU_CYCLE_1) | instskip(SKIP_1) | instid1(SALU_CYCLE_2)
	s_fmamk_f32 s2, s21, 0x4f800000, s2
	s_wait_alu 0xfffe
	v_s_rcp_f32 s2, s2
	s_delay_alu instid0(TRANS32_DEP_1) | instskip(SKIP_1) | instid1(SALU_CYCLE_2)
	s_mul_f32 s2, s2, 0x5f7ffffc
	s_wait_alu 0xfffe
	s_mul_f32 s21, s2, 0x2f800000
	s_wait_alu 0xfffe
	s_delay_alu instid0(SALU_CYCLE_2) | instskip(SKIP_1) | instid1(SALU_CYCLE_2)
	s_trunc_f32 s21, s21
	s_wait_alu 0xfffe
	s_fmamk_f32 s2, s21, 0xcf800000, s2
	s_cvt_u32_f32 s23, s21
	s_wait_alu 0xfffe
	s_delay_alu instid0(SALU_CYCLE_1) | instskip(SKIP_1) | instid1(SALU_CYCLE_2)
	s_cvt_u32_f32 s22, s2
	s_wait_alu 0xfffe
	s_mul_u64 s[26:27], s[24:25], s[22:23]
	s_wait_alu 0xfffe
	s_mul_hi_u32 s29, s22, s27
	s_mul_i32 s28, s22, s27
	s_mul_hi_u32 s2, s22, s26
	s_mul_i32 s30, s23, s26
	s_wait_alu 0xfffe
	s_add_nc_u64 s[28:29], s[2:3], s[28:29]
	s_mul_hi_u32 s21, s23, s26
	s_mul_hi_u32 s31, s23, s27
	s_add_co_u32 s2, s28, s30
	s_wait_alu 0xfffe
	s_add_co_ci_u32 s2, s29, s21
	s_mul_i32 s26, s23, s27
	s_add_co_ci_u32 s27, s31, 0
	s_wait_alu 0xfffe
	s_add_nc_u64 s[26:27], s[2:3], s[26:27]
	s_wait_alu 0xfffe
	v_add_co_u32 v4, s2, s22, s26
	s_delay_alu instid0(VALU_DEP_1) | instskip(SKIP_1) | instid1(VALU_DEP_1)
	s_cmp_lg_u32 s2, 0
	s_add_co_ci_u32 s23, s23, s27
	v_readfirstlane_b32 s22, v4
	s_wait_alu 0xfffe
	s_delay_alu instid0(VALU_DEP_1)
	s_mul_u64 s[24:25], s[24:25], s[22:23]
	s_wait_alu 0xfffe
	s_mul_hi_u32 s27, s22, s25
	s_mul_i32 s26, s22, s25
	s_mul_hi_u32 s2, s22, s24
	s_mul_i32 s28, s23, s24
	s_wait_alu 0xfffe
	s_add_nc_u64 s[26:27], s[2:3], s[26:27]
	s_mul_hi_u32 s21, s23, s24
	s_mul_hi_u32 s22, s23, s25
	s_wait_alu 0xfffe
	s_add_co_u32 s2, s26, s28
	s_add_co_ci_u32 s2, s27, s21
	s_mul_i32 s24, s23, s25
	s_add_co_ci_u32 s25, s22, 0
	s_wait_alu 0xfffe
	s_add_nc_u64 s[24:25], s[2:3], s[24:25]
	s_wait_alu 0xfffe
	v_add_co_u32 v4, s2, v4, s24
	s_delay_alu instid0(VALU_DEP_1) | instskip(SKIP_1) | instid1(VALU_DEP_1)
	s_cmp_lg_u32 s2, 0
	s_add_co_ci_u32 s2, s23, s25
	v_mul_hi_u32 v13, v5, v4
	s_wait_alu 0xfffe
	v_mad_co_u64_u32 v[7:8], null, v5, s2, 0
	v_mad_co_u64_u32 v[9:10], null, v6, v4, 0
	;; [unrolled: 1-line block ×3, first 2 shown]
	s_delay_alu instid0(VALU_DEP_3) | instskip(SKIP_1) | instid1(VALU_DEP_4)
	v_add_co_u32 v4, vcc_lo, v13, v7
	s_wait_alu 0xfffd
	v_add_co_ci_u32_e32 v7, vcc_lo, 0, v8, vcc_lo
	s_delay_alu instid0(VALU_DEP_2) | instskip(SKIP_1) | instid1(VALU_DEP_2)
	v_add_co_u32 v4, vcc_lo, v4, v9
	s_wait_alu 0xfffd
	v_add_co_ci_u32_e32 v4, vcc_lo, v7, v10, vcc_lo
	s_wait_alu 0xfffd
	v_add_co_ci_u32_e32 v7, vcc_lo, 0, v12, vcc_lo
	s_delay_alu instid0(VALU_DEP_2) | instskip(SKIP_1) | instid1(VALU_DEP_2)
	v_add_co_u32 v4, vcc_lo, v4, v11
	s_wait_alu 0xfffd
	v_add_co_ci_u32_e32 v9, vcc_lo, 0, v7, vcc_lo
	s_delay_alu instid0(VALU_DEP_2) | instskip(SKIP_1) | instid1(VALU_DEP_3)
	v_mul_lo_u32 v10, s19, v4
	v_mad_co_u64_u32 v[7:8], null, s18, v4, 0
	v_mul_lo_u32 v11, s18, v9
	s_delay_alu instid0(VALU_DEP_2) | instskip(NEXT) | instid1(VALU_DEP_2)
	v_sub_co_u32 v7, vcc_lo, v5, v7
	v_add3_u32 v8, v8, v11, v10
	s_delay_alu instid0(VALU_DEP_1) | instskip(SKIP_1) | instid1(VALU_DEP_1)
	v_sub_nc_u32_e32 v10, v6, v8
	s_wait_alu 0xfffd
	v_subrev_co_ci_u32_e64 v10, s2, s19, v10, vcc_lo
	v_add_co_u32 v11, s2, v4, 2
	s_wait_alu 0xf1ff
	v_add_co_ci_u32_e64 v12, s2, 0, v9, s2
	v_sub_co_u32 v13, s2, v7, s18
	v_sub_co_ci_u32_e32 v8, vcc_lo, v6, v8, vcc_lo
	s_wait_alu 0xf1ff
	v_subrev_co_ci_u32_e64 v10, s2, 0, v10, s2
	s_delay_alu instid0(VALU_DEP_3) | instskip(NEXT) | instid1(VALU_DEP_3)
	v_cmp_le_u32_e32 vcc_lo, s18, v13
	v_cmp_eq_u32_e64 s2, s19, v8
	s_wait_alu 0xfffd
	v_cndmask_b32_e64 v13, 0, -1, vcc_lo
	v_cmp_le_u32_e32 vcc_lo, s19, v10
	s_wait_alu 0xfffd
	v_cndmask_b32_e64 v14, 0, -1, vcc_lo
	v_cmp_le_u32_e32 vcc_lo, s18, v7
	;; [unrolled: 3-line block ×3, first 2 shown]
	s_wait_alu 0xfffd
	v_cndmask_b32_e64 v15, 0, -1, vcc_lo
	v_cmp_eq_u32_e32 vcc_lo, s19, v10
	s_wait_alu 0xf1ff
	s_delay_alu instid0(VALU_DEP_2)
	v_cndmask_b32_e64 v7, v15, v7, s2
	s_wait_alu 0xfffd
	v_cndmask_b32_e32 v10, v14, v13, vcc_lo
	v_add_co_u32 v13, vcc_lo, v4, 1
	s_wait_alu 0xfffd
	v_add_co_ci_u32_e32 v14, vcc_lo, 0, v9, vcc_lo
	s_delay_alu instid0(VALU_DEP_3) | instskip(SKIP_1) | instid1(VALU_DEP_2)
	v_cmp_ne_u32_e32 vcc_lo, 0, v10
	s_wait_alu 0xfffd
	v_cndmask_b32_e32 v8, v14, v12, vcc_lo
	v_cndmask_b32_e32 v10, v13, v11, vcc_lo
	v_cmp_ne_u32_e32 vcc_lo, 0, v7
	s_wait_alu 0xfffd
	s_delay_alu instid0(VALU_DEP_2)
	v_dual_cndmask_b32 v9, v9, v8 :: v_dual_cndmask_b32 v8, v4, v10
.LBB0_4:                                ;   in Loop: Header=BB0_2 Depth=1
	s_wait_alu 0xfffe
	s_and_not1_saveexec_b32 s2, s20
	s_cbranch_execz .LBB0_6
; %bb.5:                                ;   in Loop: Header=BB0_2 Depth=1
	v_cvt_f32_u32_e32 v4, s18
	s_sub_co_i32 s20, 0, s18
	s_delay_alu instid0(VALU_DEP_1) | instskip(NEXT) | instid1(TRANS32_DEP_1)
	v_rcp_iflag_f32_e32 v4, v4
	v_mul_f32_e32 v4, 0x4f7ffffe, v4
	s_delay_alu instid0(VALU_DEP_1) | instskip(SKIP_1) | instid1(VALU_DEP_1)
	v_cvt_u32_f32_e32 v4, v4
	s_wait_alu 0xfffe
	v_mul_lo_u32 v7, s20, v4
	s_delay_alu instid0(VALU_DEP_1) | instskip(NEXT) | instid1(VALU_DEP_1)
	v_mul_hi_u32 v7, v4, v7
	v_add_nc_u32_e32 v4, v4, v7
	s_delay_alu instid0(VALU_DEP_1) | instskip(NEXT) | instid1(VALU_DEP_1)
	v_mul_hi_u32 v4, v5, v4
	v_mul_lo_u32 v7, v4, s18
	v_add_nc_u32_e32 v8, 1, v4
	s_delay_alu instid0(VALU_DEP_2) | instskip(NEXT) | instid1(VALU_DEP_1)
	v_sub_nc_u32_e32 v7, v5, v7
	v_subrev_nc_u32_e32 v9, s18, v7
	v_cmp_le_u32_e32 vcc_lo, s18, v7
	s_wait_alu 0xfffd
	s_delay_alu instid0(VALU_DEP_2) | instskip(SKIP_1) | instid1(VALU_DEP_2)
	v_cndmask_b32_e32 v7, v7, v9, vcc_lo
	v_dual_mov_b32 v9, v3 :: v_dual_cndmask_b32 v4, v4, v8
	v_cmp_le_u32_e32 vcc_lo, s18, v7
	s_delay_alu instid0(VALU_DEP_2) | instskip(SKIP_1) | instid1(VALU_DEP_1)
	v_add_nc_u32_e32 v8, 1, v4
	s_wait_alu 0xfffd
	v_cndmask_b32_e32 v8, v4, v8, vcc_lo
.LBB0_6:                                ;   in Loop: Header=BB0_2 Depth=1
	s_wait_alu 0xfffe
	s_or_b32 exec_lo, exec_lo, s2
	s_load_b64 s[20:21], s[12:13], 0x0
	v_mul_lo_u32 v4, v9, s18
	v_mul_lo_u32 v7, v8, s19
	v_mad_co_u64_u32 v[10:11], null, v8, s18, 0
	s_add_nc_u64 s[14:15], s[14:15], 1
	s_add_nc_u64 s[12:13], s[12:13], 8
	s_wait_alu 0xfffe
	v_cmp_ge_u64_e64 s2, s[14:15], s[6:7]
	s_add_nc_u64 s[16:17], s[16:17], 8
	s_delay_alu instid0(VALU_DEP_2) | instskip(NEXT) | instid1(VALU_DEP_3)
	v_add3_u32 v4, v11, v7, v4
	v_sub_co_u32 v5, vcc_lo, v5, v10
	s_wait_alu 0xfffd
	s_delay_alu instid0(VALU_DEP_2) | instskip(SKIP_3) | instid1(VALU_DEP_2)
	v_sub_co_ci_u32_e32 v4, vcc_lo, v6, v4, vcc_lo
	s_and_b32 vcc_lo, exec_lo, s2
	s_wait_kmcnt 0x0
	v_mul_lo_u32 v6, s21, v5
	v_mul_lo_u32 v4, s20, v4
	v_mad_co_u64_u32 v[1:2], null, s20, v5, v[1:2]
	s_delay_alu instid0(VALU_DEP_1)
	v_add3_u32 v2, v6, v2, v4
	s_wait_alu 0xfffe
	s_cbranch_vccnz .LBB0_9
; %bb.7:                                ;   in Loop: Header=BB0_2 Depth=1
	v_dual_mov_b32 v5, v8 :: v_dual_mov_b32 v6, v9
	s_branch .LBB0_2
.LBB0_8:
	v_dual_mov_b32 v9, v6 :: v_dual_mov_b32 v8, v5
.LBB0_9:
	s_lshl_b64 s[2:3], s[6:7], 3
	v_mul_hi_u32 v3, 0x2aaaaab, v0
	s_wait_alu 0xfffe
	s_add_nc_u64 s[2:3], s[10:11], s[2:3]
	s_load_b64 s[0:1], s[0:1], 0x20
	s_load_b64 s[2:3], s[2:3], 0x0
	s_delay_alu instid0(VALU_DEP_1) | instskip(NEXT) | instid1(VALU_DEP_1)
	v_mul_u32_u24_e32 v3, 0x60, v3
	v_sub_nc_u32_e32 v5, v0, v3
	s_delay_alu instid0(VALU_DEP_1)
	v_or_b32_e32 v7, 0x180, v5
	s_wait_kmcnt 0x0
	v_cmp_gt_u64_e32 vcc_lo, s[0:1], v[8:9]
	v_mul_lo_u32 v3, s2, v9
	v_mul_lo_u32 v4, s3, v8
	v_mad_co_u64_u32 v[0:1], null, s2, v8, v[1:2]
	v_cmp_le_u64_e64 s0, s[0:1], v[8:9]
	v_or_b32_e32 v2, 0x300, v5
	s_delay_alu instid0(VALU_DEP_3) | instskip(SKIP_1) | instid1(VALU_DEP_4)
	v_add3_u32 v1, v4, v1, v3
	v_or_b32_e32 v4, 0x480, v5
	s_and_saveexec_b32 s1, s0
	s_wait_alu 0xfffe
	s_xor_b32 s0, exec_lo, s1
; %bb.10:
	v_mov_b32_e32 v6, 0
	v_or_b32_e32 v7, 0x180, v5
	v_or_b32_e32 v2, 0x300, v5
	;; [unrolled: 1-line block ×3, first 2 shown]
	s_delay_alu instid0(VALU_DEP_4)
	v_mov_b32_e32 v8, v6
; %bb.11:
	s_wait_alu 0xfffe
	s_or_saveexec_b32 s1, s0
	v_lshlrev_b64_e32 v[0:1], 3, v[0:1]
                                        ; implicit-def: $vgpr17
                                        ; implicit-def: $vgpr68
                                        ; implicit-def: $vgpr64
                                        ; implicit-def: $vgpr70
                                        ; implicit-def: $vgpr66
                                        ; implicit-def: $vgpr15
                                        ; implicit-def: $vgpr33
                                        ; implicit-def: $vgpr37
                                        ; implicit-def: $vgpr41
                                        ; implicit-def: $vgpr39
                                        ; implicit-def: $vgpr10
                                        ; implicit-def: $vgpr19
                                        ; implicit-def: $vgpr25
                                        ; implicit-def: $vgpr27
                                        ; implicit-def: $vgpr29
                                        ; implicit-def: $vgpr21
                                        ; implicit-def: $vgpr23
                                        ; implicit-def: $vgpr35
                                        ; implicit-def: $vgpr50
                                        ; implicit-def: $vgpr12
                                        ; implicit-def: $vgpr46
                                        ; implicit-def: $vgpr48
                                        ; implicit-def: $vgpr43
                                        ; implicit-def: $vgpr52
                                        ; implicit-def: $vgpr31
                                        ; implicit-def: $vgpr56
                                        ; implicit-def: $vgpr60
                                        ; implicit-def: $vgpr62
                                        ; implicit-def: $vgpr58
                                        ; implicit-def: $vgpr54
	s_wait_alu 0xfffe
	s_xor_b32 exec_lo, exec_lo, s1
; %bb.12:
	v_mov_b32_e32 v6, 0
	s_delay_alu instid0(VALU_DEP_2) | instskip(SKIP_2) | instid1(VALU_DEP_3)
	v_add_co_u32 v3, s0, s8, v0
	s_wait_alu 0xf1ff
	v_add_co_ci_u32_e64 v10, s0, s9, v1, s0
	v_lshlrev_b64_e32 v[8:9], 3, v[5:6]
	s_delay_alu instid0(VALU_DEP_1) | instskip(SKIP_1) | instid1(VALU_DEP_2)
	v_add_co_u32 v20, s0, v3, v8
	s_wait_alu 0xf1ff
	v_add_co_ci_u32_e64 v21, s0, v10, v9, s0
	v_mov_b32_e32 v8, v6
	s_clause 0x1d
	global_load_b64 v[16:17], v[20:21], off
	global_load_b64 v[14:15], v[20:21], off offset:768
	global_load_b64 v[30:31], v[20:21], off offset:3072
	;; [unrolled: 1-line block ×29, first 2 shown]
; %bb.13:
	s_or_b32 exec_lo, exec_lo, s1
	s_wait_loadcnt 0x9
	v_dual_add_f32 v3, v63, v69 :: v_dual_sub_f32 v44, v68, v66
	v_dual_add_f32 v13, v16, v67 :: v_dual_add_f32 v74, v67, v65
	v_dual_sub_f32 v71, v64, v70 :: v_dual_sub_f32 v72, v67, v63
	s_delay_alu instid0(VALU_DEP_3) | instskip(SKIP_1) | instid1(VALU_DEP_4)
	v_fma_f32 v73, -0.5, v3, v16
	v_sub_f32_e32 v3, v65, v69
	v_dual_add_f32 v13, v13, v63 :: v_dual_fmac_f32 v16, -0.5, v74
	s_delay_alu instid0(VALU_DEP_3) | instskip(SKIP_1) | instid1(VALU_DEP_3)
	v_dual_sub_f32 v75, v63, v67 :: v_dual_fmamk_f32 v76, v44, 0xbf737871, v73
	v_dual_fmac_f32 v73, 0x3f737871, v44 :: v_dual_add_f32 v78, v64, v70
	v_dual_add_f32 v3, v72, v3 :: v_dual_fmamk_f32 v74, v71, 0x3f737871, v16
	s_delay_alu instid0(VALU_DEP_3) | instskip(NEXT) | instid1(VALU_DEP_3)
	v_dual_add_f32 v13, v13, v69 :: v_dual_fmac_f32 v76, 0xbf167918, v71
	v_dual_sub_f32 v72, v69, v65 :: v_dual_fmac_f32 v73, 0x3f167918, v71
	v_dual_add_f32 v77, v17, v68 :: v_dual_fmac_f32 v16, 0xbf737871, v71
	s_delay_alu instid0(VALU_DEP_3) | instskip(SKIP_1) | instid1(VALU_DEP_4)
	v_dual_add_f32 v13, v13, v65 :: v_dual_fmac_f32 v76, 0x3e9e377a, v3
	v_fmac_f32_e32 v74, 0xbf167918, v44
	v_add_f32_e32 v72, v75, v72
	s_delay_alu instid0(VALU_DEP_4) | instskip(SKIP_1) | instid1(VALU_DEP_3)
	v_dual_add_f32 v71, v77, v64 :: v_dual_sub_f32 v86, v67, v65
	v_fmac_f32_e32 v73, 0x3e9e377a, v3
	v_dual_add_f32 v3, v68, v66 :: v_dual_fmac_f32 v74, 0x3e9e377a, v72
	v_fma_f32 v85, -0.5, v78, v17
	v_dual_fmac_f32 v16, 0x3f167918, v44 :: v_dual_sub_f32 v89, v63, v69
	s_delay_alu instid0(VALU_DEP_3) | instskip(NEXT) | instid1(VALU_DEP_3)
	v_dual_add_f32 v44, v71, v70 :: v_dual_fmac_f32 v17, -0.5, v3
	v_dual_fmamk_f32 v88, v86, 0x3f737871, v85 :: v_dual_sub_f32 v3, v68, v64
	s_delay_alu instid0(VALU_DEP_3) | instskip(NEXT) | instid1(VALU_DEP_3)
	v_dual_sub_f32 v63, v66, v70 :: v_dual_fmac_f32 v16, 0x3e9e377a, v72
	v_dual_add_f32 v87, v44, v66 :: v_dual_fmamk_f32 v90, v89, 0xbf737871, v17
	s_delay_alu instid0(VALU_DEP_2) | instskip(SKIP_2) | instid1(VALU_DEP_3)
	v_dual_sub_f32 v44, v64, v68 :: v_dual_add_f32 v91, v3, v63
	s_wait_loadcnt 0x5
	v_dual_sub_f32 v64, v70, v66 :: v_dual_add_f32 v3, v59, v61
	v_dual_fmac_f32 v90, 0x3f167918, v86 :: v_dual_add_f32 v63, v57, v53
	s_delay_alu instid0(VALU_DEP_2) | instskip(SKIP_1) | instid1(VALU_DEP_4)
	v_dual_fmac_f32 v17, 0x3f737871, v89 :: v_dual_add_f32 v44, v44, v64
	v_fmac_f32_e32 v88, 0x3f167918, v89
	v_fma_f32 v92, -0.5, v3, v53
	s_wait_loadcnt 0x3
	v_sub_f32_e32 v3, v58, v56
	v_dual_fmac_f32 v17, 0xbf167918, v86 :: v_dual_sub_f32 v66, v57, v61
	v_dual_fmac_f32 v90, 0x3e9e377a, v44 :: v_dual_add_f32 v63, v61, v63
	s_delay_alu instid0(VALU_DEP_2) | instskip(SKIP_1) | instid1(VALU_DEP_2)
	v_dual_add_f32 v68, v55, v57 :: v_dual_fmac_f32 v17, 0x3e9e377a, v44
	v_dual_fmac_f32 v88, 0x3e9e377a, v91 :: v_dual_sub_f32 v65, v62, v60
	v_dual_fmamk_f32 v64, v3, 0xbf737871, v92 :: v_dual_fmac_f32 v53, -0.5, v68
	v_sub_f32_e32 v67, v55, v59
	v_fmac_f32_e32 v92, 0x3f737871, v3
	s_delay_alu instid0(VALU_DEP_3) | instskip(SKIP_1) | instid1(VALU_DEP_4)
	v_dual_add_f32 v63, v59, v63 :: v_dual_fmac_f32 v64, 0xbf167918, v65
	v_sub_f32_e32 v68, v59, v55
	v_dual_add_f32 v66, v67, v66 :: v_dual_sub_f32 v67, v61, v57
	s_delay_alu instid0(VALU_DEP_3) | instskip(SKIP_2) | instid1(VALU_DEP_4)
	v_dual_add_f32 v44, v55, v63 :: v_dual_fmamk_f32 v63, v65, 0x3f737871, v53
	v_fmac_f32_e32 v53, 0xbf737871, v65
	v_fmac_f32_e32 v92, 0x3f167918, v65
	v_dual_fmac_f32 v64, 0x3e9e377a, v66 :: v_dual_sub_f32 v55, v57, v55
	s_delay_alu instid0(VALU_DEP_4) | instskip(NEXT) | instid1(VALU_DEP_3)
	v_fmac_f32_e32 v63, 0xbf167918, v3
	v_dual_sub_f32 v59, v61, v59 :: v_dual_fmac_f32 v92, 0x3e9e377a, v66
	v_add_f32_e32 v66, v60, v62
	v_sub_f32_e32 v61, v56, v60
	v_mul_f32_e32 v95, 0x3f167918, v64
	v_lshl_add_u32 v78, v7, 2, 0
	v_cmp_gt_u32_e64 s0, 60, v5
	v_fma_f32 v93, -0.5, v66, v54
	s_wait_loadcnt 0x1
	v_dual_add_f32 v65, v56, v58 :: v_dual_sub_f32 v70, v45, v47
	v_dual_add_f32 v104, v52, v31 :: v_dual_add_f32 v71, v9, v18
	s_delay_alu instid0(VALU_DEP_3) | instskip(SKIP_1) | instid1(VALU_DEP_4)
	v_fmamk_f32 v66, v55, 0x3f737871, v93
	v_fmac_f32_e32 v53, 0x3f167918, v3
	v_dual_add_f32 v3, v58, v54 :: v_dual_fmac_f32 v54, -0.5, v65
	v_add_f32_e32 v57, v68, v67
	v_sub_f32_e32 v75, v26, v28
	s_delay_alu instid0(VALU_DEP_2)
	v_fmac_f32_e32 v63, 0x3e9e377a, v57
	v_fmac_f32_e32 v53, 0x3e9e377a, v57
	v_sub_f32_e32 v57, v58, v62
	v_sub_f32_e32 v58, v62, v58
	v_fmac_f32_e32 v66, 0x3f167918, v59
	v_fmamk_f32 v65, v59, 0xbf737871, v54
	s_delay_alu instid0(VALU_DEP_4) | instskip(NEXT) | instid1(VALU_DEP_1)
	v_dual_fmac_f32 v54, 0x3f737871, v59 :: v_dual_add_f32 v57, v61, v57
	v_fmac_f32_e32 v54, 0xbf167918, v55
	s_delay_alu instid0(VALU_DEP_2) | instskip(SKIP_2) | instid1(VALU_DEP_3)
	v_dual_add_f32 v3, v62, v3 :: v_dual_fmac_f32 v66, 0x3e9e377a, v57
	v_sub_f32_e32 v62, v60, v56
	v_mul_f32_e32 v96, 0x3f737871, v63
	v_mul_f32_e32 v61, 0xbf167918, v66
	s_delay_alu instid0(VALU_DEP_3) | instskip(SKIP_1) | instid1(VALU_DEP_3)
	v_dual_add_f32 v58, v62, v58 :: v_dual_add_f32 v3, v60, v3
	v_sub_f32_e32 v60, v13, v44
	v_fmac_f32_e32 v61, 0x3f4f1bbd, v64
	s_delay_alu instid0(VALU_DEP_3) | instskip(NEXT) | instid1(VALU_DEP_4)
	v_fmac_f32_e32 v54, 0x3e9e377a, v58
	v_add_f32_e32 v94, v56, v3
	v_fmac_f32_e32 v65, 0x3f167918, v55
	s_delay_alu instid0(VALU_DEP_4) | instskip(NEXT) | instid1(VALU_DEP_4)
	v_dual_add_f32 v3, v14, v32 :: v_dual_add_f32 v56, v76, v61
	v_mul_f32_e32 v67, 0xbf737871, v54
	v_dual_mul_f32 v97, 0xbe9e377a, v54 :: v_dual_sub_f32 v64, v37, v41
	s_delay_alu instid0(VALU_DEP_4) | instskip(SKIP_3) | instid1(VALU_DEP_4)
	v_fmac_f32_e32 v65, 0x3e9e377a, v58
	v_dual_fmac_f32 v93, 0xbf737871, v55 :: v_dual_add_f32 v54, v36, v40
	v_add_f32_e32 v55, v13, v44
	v_sub_f32_e32 v44, v33, v39
	v_mul_f32_e32 v62, 0xbf737871, v65
	s_delay_alu instid0(VALU_DEP_4)
	v_fmac_f32_e32 v93, 0xbf167918, v59
	v_sub_f32_e32 v61, v76, v61
	v_add_f32_e32 v13, v3, v36
	v_fma_f32 v3, -0.5, v54, v14
	v_fmac_f32_e32 v62, 0x3e9e377a, v63
	v_fmac_f32_e32 v67, 0xbe9e377a, v53
	;; [unrolled: 1-line block ×3, first 2 shown]
	s_delay_alu instid0(VALU_DEP_3) | instskip(SKIP_1) | instid1(VALU_DEP_4)
	v_dual_fmac_f32 v96, 0x3e9e377a, v65 :: v_dual_add_f32 v57, v74, v62
	v_sub_f32_e32 v62, v74, v62
	v_add_f32_e32 v58, v16, v67
	s_delay_alu instid0(VALU_DEP_4) | instskip(NEXT) | instid1(VALU_DEP_1)
	v_mul_f32_e32 v68, 0xbf167918, v93
	v_fmac_f32_e32 v68, 0xbf4f1bbd, v92
	v_fmac_f32_e32 v97, 0x3f737871, v53
	v_sub_f32_e32 v53, v16, v67
	v_add_f32_e32 v16, v32, v38
	v_sub_f32_e32 v67, v40, v38
	v_dual_fmac_f32 v95, 0x3f4f1bbd, v66 :: v_dual_sub_f32 v66, v38, v40
	v_sub_f32_e32 v54, v73, v68
	s_delay_alu instid0(VALU_DEP_4) | instskip(SKIP_4) | instid1(VALU_DEP_4)
	v_fmac_f32_e32 v14, -0.5, v16
	v_sub_f32_e32 v16, v36, v32
	v_add_f32_e32 v59, v73, v68
	v_fmamk_f32 v63, v44, 0xbf737871, v3
	v_dual_fmac_f32 v3, 0x3f737871, v44 :: v_dual_add_f32 v68, v47, v42
	v_add_f32_e32 v67, v16, v67
	v_sub_f32_e32 v65, v32, v36
	v_dual_add_f32 v105, v87, v94 :: v_dual_add_f32 v108, v17, v97
	s_delay_alu instid0(VALU_DEP_4) | instskip(SKIP_1) | instid1(VALU_DEP_4)
	v_fmac_f32_e32 v3, 0x3f167918, v64
	v_fma_f32 v16, -0.5, v68, v30
	v_dual_add_f32 v65, v65, v66 :: v_dual_fmamk_f32 v66, v64, 0x3f737871, v14
	v_fmac_f32_e32 v14, 0xbf737871, v64
	v_dual_fmac_f32 v63, 0xbf167918, v64 :: v_dual_add_f32 v64, v51, v30
	v_dual_sub_f32 v68, v52, v46 :: v_dual_add_f32 v13, v13, v40
	s_delay_alu instid0(VALU_DEP_4) | instskip(NEXT) | instid1(VALU_DEP_4)
	v_fmac_f32_e32 v66, 0xbf167918, v44
	v_fmac_f32_e32 v14, 0x3f167918, v44
	s_delay_alu instid0(VALU_DEP_4) | instskip(NEXT) | instid1(VALU_DEP_4)
	v_add_f32_e32 v44, v42, v64
	v_dual_fmamk_f32 v98, v68, 0xbf737871, v16 :: v_dual_add_f32 v13, v13, v38
	v_dual_sub_f32 v69, v51, v42 :: v_dual_fmac_f32 v16, 0x3f737871, v68
	s_delay_alu instid0(VALU_DEP_3) | instskip(SKIP_2) | instid1(VALU_DEP_3)
	v_dual_add_f32 v44, v47, v44 :: v_dual_fmac_f32 v63, 0x3e9e377a, v65
	v_sub_f32_e32 v64, v43, v48
	v_fmac_f32_e32 v66, 0x3e9e377a, v67
	v_dual_fmac_f32 v14, 0x3e9e377a, v67 :: v_dual_add_f32 v67, v45, v44
	v_dual_add_f32 v44, v48, v43 :: v_dual_fmac_f32 v3, 0x3e9e377a, v65
	s_delay_alu instid0(VALU_DEP_4) | instskip(SKIP_1) | instid1(VALU_DEP_3)
	v_dual_add_f32 v65, v45, v51 :: v_dual_fmac_f32 v98, 0xbf167918, v64
	v_fmac_f32_e32 v16, 0x3f167918, v64
	v_fma_f32 v100, -0.5, v44, v31
	v_sub_f32_e32 v44, v51, v45
	s_delay_alu instid0(VALU_DEP_4) | instskip(SKIP_2) | instid1(VALU_DEP_4)
	v_fmac_f32_e32 v30, -0.5, v65
	v_add_f32_e32 v65, v70, v69
	v_dual_sub_f32 v69, v47, v45 :: v_dual_add_f32 v70, v46, v52
	v_fmamk_f32 v101, v44, 0x3f737871, v100
	s_delay_alu instid0(VALU_DEP_4) | instskip(NEXT) | instid1(VALU_DEP_4)
	v_fmamk_f32 v99, v64, 0x3f737871, v30
	v_fmac_f32_e32 v98, 0x3e9e377a, v65
	v_dual_fmac_f32 v16, 0x3e9e377a, v65 :: v_dual_sub_f32 v65, v42, v51
	s_delay_alu instid0(VALU_DEP_3) | instskip(SKIP_2) | instid1(VALU_DEP_4)
	v_dual_sub_f32 v42, v42, v47 :: v_dual_fmac_f32 v99, 0xbf167918, v68
	v_fmac_f32_e32 v31, -0.5, v70
	v_sub_f32_e32 v47, v52, v43
	v_add_f32_e32 v45, v69, v65
	v_sub_f32_e32 v51, v46, v48
	v_sub_f32_e32 v52, v43, v52
	v_dual_fmamk_f32 v102, v42, 0xbf737871, v31 :: v_dual_sub_f32 v65, v48, v46
	v_fmac_f32_e32 v101, 0x3f167918, v42
	s_delay_alu instid0(VALU_DEP_4) | instskip(NEXT) | instid1(VALU_DEP_3)
	v_dual_add_f32 v47, v51, v47 :: v_dual_fmac_f32 v30, 0xbf737871, v64
	v_fmac_f32_e32 v102, 0x3f167918, v44
	v_fmac_f32_e32 v100, 0xbf737871, v44
	v_add_f32_e32 v51, v65, v52
	v_fmac_f32_e32 v31, 0x3f737871, v42
	v_add_f32_e32 v64, v24, v26
	v_sub_f32_e32 v65, v28, v26
	v_fmac_f32_e32 v100, 0xbf167918, v42
	v_dual_fmac_f32 v99, 0x3e9e377a, v45 :: v_dual_fmac_f32 v102, 0x3e9e377a, v51
	v_dual_fmac_f32 v31, 0xbf167918, v44 :: v_dual_sub_f32 v70, v19, v29
	s_delay_alu instid0(VALU_DEP_3) | instskip(SKIP_1) | instid1(VALU_DEP_4)
	v_fmac_f32_e32 v100, 0x3e9e377a, v47
	v_fma_f32 v69, -0.5, v64, v9
	v_mul_f32_e32 v42, 0xbf737871, v102
	s_delay_alu instid0(VALU_DEP_4)
	v_fmac_f32_e32 v31, 0x3e9e377a, v51
	v_add_f32_e32 v44, v13, v67
	v_add_f32_e32 v106, v88, v95
	v_fmamk_f32 v72, v70, 0xbf737871, v69
	v_fmac_f32_e32 v42, 0x3e9e377a, v99
	v_fmac_f32_e32 v30, 0x3f167918, v68
	v_mul_f32_e32 v68, 0xbf167918, v100
	v_dual_fmac_f32 v69, 0x3f737871, v70 :: v_dual_sub_f32 v88, v88, v95
	s_delay_alu instid0(VALU_DEP_4) | instskip(NEXT) | instid1(VALU_DEP_4)
	v_add_f32_e32 v51, v66, v42
	v_dual_fmac_f32 v101, 0x3e9e377a, v47 :: v_dual_fmac_f32 v30, 0x3e9e377a, v45
	v_mul_f32_e32 v47, 0xbf737871, v31
	v_fmac_f32_e32 v68, 0xbf4f1bbd, v16
	v_mul_f32_e32 v31, 0xbe9e377a, v31
	s_delay_alu instid0(VALU_DEP_4) | instskip(SKIP_3) | instid1(VALU_DEP_4)
	v_mul_f32_e32 v52, 0xbf167918, v101
	v_sub_f32_e32 v32, v32, v38
	v_fmac_f32_e32 v47, 0xbe9e377a, v30
	v_dual_fmac_f32 v85, 0xbf737871, v86 :: v_dual_sub_f32 v86, v17, v97
	v_dual_fmac_f32 v52, 0x3f4f1bbd, v98 :: v_dual_add_f32 v17, v15, v33
	v_sub_f32_e32 v36, v36, v40
	v_sub_f32_e32 v40, v33, v37
	;; [unrolled: 1-line block ×3, first 2 shown]
	s_delay_alu instid0(VALU_DEP_4)
	v_add_f32_e32 v45, v63, v52
	v_sub_f32_e32 v63, v63, v52
	v_sub_f32_e32 v52, v18, v24
	;; [unrolled: 1-line block ×3, first 2 shown]
	v_add_f32_e32 v42, v18, v28
	v_dual_sub_f32 v74, v25, v27 :: v_dual_fmac_f32 v31, 0x3f737871, v30
	s_delay_alu instid0(VALU_DEP_4) | instskip(SKIP_1) | instid1(VALU_DEP_4)
	v_add_f32_e32 v73, v52, v65
	v_add_f32_e32 v17, v17, v37
	v_fmac_f32_e32 v9, -0.5, v42
	v_mul_u32_u24_e32 v42, 10, v5
	v_dual_sub_f32 v66, v13, v67 :: v_dual_add_f32 v13, v22, v34
	v_dual_add_f32 v52, v14, v47 :: v_dual_fmac_f32 v69, 0x3f167918, v74
	s_delay_alu instid0(VALU_DEP_3)
	v_lshl_add_u32 v103, v42, 2, 0
	v_dual_fmamk_f32 v42, v74, 0x3f737871, v9 :: v_dual_sub_f32 v67, v24, v18
	v_fmac_f32_e32 v72, 0xbf167918, v74
	v_fmac_f32_e32 v9, 0xbf737871, v74
	v_fma_f32 v109, -0.5, v13, v11
	s_wait_loadcnt 0x0
	v_dual_sub_f32 v13, v50, v21 :: v_dual_fmac_f32 v42, 0xbf167918, v70
	v_dual_fmac_f32 v72, 0x3e9e377a, v73 :: v_dual_add_f32 v67, v67, v75
	v_dual_fmac_f32 v9, 0x3f167918, v70 :: v_dual_sub_f32 v70, v35, v23
	v_fmac_f32_e32 v69, 0x3e9e377a, v73
	s_delay_alu instid0(VALU_DEP_4) | instskip(NEXT) | instid1(VALU_DEP_4)
	v_dual_fmamk_f32 v110, v13, 0xbf737871, v109 :: v_dual_add_f32 v73, v20, v49
	v_fmac_f32_e32 v42, 0x3e9e377a, v67
	s_delay_alu instid0(VALU_DEP_4) | instskip(NEXT) | instid1(VALU_DEP_3)
	v_fmac_f32_e32 v9, 0x3e9e377a, v67
	v_dual_add_f32 v67, v49, v11 :: v_dual_fmac_f32 v110, 0xbf167918, v70
	s_delay_alu instid0(VALU_DEP_4)
	v_fmac_f32_e32 v11, -0.5, v73
	ds_store_2addr_b64 v103, v[55:56], v[57:58] offset1:1
	ds_store_2addr_b64 v103, v[59:60], v[61:62] offset0:2 offset1:3
	v_dual_sub_f32 v55, v49, v34 :: v_dual_sub_f32 v58, v22, v20
	v_dual_sub_f32 v56, v20, v22 :: v_dual_sub_f32 v57, v34, v49
	v_add_nc_u32_e32 v112, 0xf00, v103
	v_fmac_f32_e32 v109, 0x3f737871, v13
	v_sub_f32_e32 v59, v21, v23
	s_delay_alu instid0(VALU_DEP_4)
	v_add_f32_e32 v55, v56, v55
	v_dual_add_f32 v56, v23, v35 :: v_dual_add_f32 v57, v58, v57
	v_add_nc_u32_e32 v114, 0xf10, v103
	v_dual_add_f32 v58, v21, v50 :: v_dual_fmamk_f32 v111, v70, 0x3f737871, v11
	v_fmac_f32_e32 v11, 0xbf737871, v70
	v_fmac_f32_e32 v109, 0x3f167918, v70
	v_fma_f32 v113, -0.5, v56, v12
	v_sub_f32_e32 v56, v50, v35
	v_dual_add_f32 v115, v50, v12 :: v_dual_fmac_f32 v12, -0.5, v58
	v_dual_sub_f32 v50, v35, v50 :: v_dual_fmac_f32 v111, 0xbf167918, v13
	s_delay_alu instid0(VALU_DEP_3)
	v_add_f32_e32 v56, v59, v56
	v_sub_f32_e32 v58, v23, v21
	v_fmac_f32_e32 v11, 0x3f167918, v13
	v_sub_f32_e32 v13, v34, v22
	v_dual_sub_f32 v49, v49, v20 :: v_dual_add_f32 v34, v34, v67
	v_fmac_f32_e32 v111, 0x3e9e377a, v57
	v_add_f32_e32 v65, v3, v68
	s_delay_alu instid0(VALU_DEP_4) | instskip(NEXT) | instid1(VALU_DEP_4)
	v_fmamk_f32 v117, v13, 0xbf737871, v12
	v_fmamk_f32 v116, v49, 0x3f737871, v113
	v_fmac_f32_e32 v12, 0x3f737871, v13
	v_add_f32_e32 v22, v22, v34
	v_dual_add_f32 v107, v90, v96 :: v_dual_fmac_f32 v110, 0x3e9e377a, v55
	s_delay_alu instid0(VALU_DEP_4)
	v_fmac_f32_e32 v116, 0x3f167918, v13
	v_fmac_f32_e32 v113, 0xbf737871, v49
	;; [unrolled: 1-line block ×4, first 2 shown]
	v_add_f32_e32 v20, v20, v22
	v_fmac_f32_e32 v116, 0x3e9e377a, v56
	v_fmac_f32_e32 v113, 0xbf167918, v13
	v_dual_add_f32 v13, v58, v50 :: v_dual_add_f32 v50, v71, v24
	ds_store_2addr_b64 v112, v[44:45], v[51:52] offset1:1
	ds_store_2addr_b64 v114, v[65:66], v[63:64] offset1:1
	v_add_nc_u32_e32 v119, 0x1e10, v103
	v_dual_fmac_f32 v85, 0xbf167918, v89 :: v_dual_add_f32 v30, v40, v38
	v_dual_add_f32 v49, v50, v26 :: v_dual_sub_f32 v50, v3, v68
	v_fmac_f32_e32 v117, 0x3e9e377a, v13
	v_fmac_f32_e32 v12, 0x3e9e377a, v13
	v_dual_add_f32 v17, v17, v41 :: v_dual_mul_f32 v38, 0xbf4f1bbd, v100
	s_delay_alu instid0(VALU_DEP_3) | instskip(SKIP_1) | instid1(VALU_DEP_4)
	v_dual_add_f32 v3, v49, v28 :: v_dual_mul_f32 v22, 0xbf737871, v117
	v_fmac_f32_e32 v11, 0x3e9e377a, v57
	v_mul_f32_e32 v34, 0xbf737871, v12
	s_delay_alu instid0(VALU_DEP_3) | instskip(NEXT) | instid1(VALU_DEP_4)
	v_dual_fmac_f32 v109, 0x3e9e377a, v55 :: v_dual_add_f32 v44, v3, v20
	v_dual_fmac_f32 v22, 0x3e9e377a, v111 :: v_dual_fmac_f32 v113, 0x3e9e377a, v56
	s_delay_alu instid0(VALU_DEP_3) | instskip(SKIP_1) | instid1(VALU_DEP_3)
	v_fmac_f32_e32 v34, 0xbe9e377a, v11
	v_dual_sub_f32 v56, v3, v20 :: v_dual_fmac_f32 v85, 0x3e9e377a, v91
	v_add_f32_e32 v51, v42, v22
	s_delay_alu instid0(VALU_DEP_3) | instskip(SKIP_4) | instid1(VALU_DEP_4)
	v_dual_mul_f32 v13, 0xbf167918, v116 :: v_dual_add_f32 v52, v9, v34
	v_dual_sub_f32 v58, v42, v22 :: v_dual_mul_f32 v59, 0xbf167918, v113
	v_mad_i32_i24 v42, 0xffffffdc, v5, v103
	v_sub_f32_e32 v49, v14, v47
	v_dual_add_f32 v17, v17, v39 :: v_dual_fmac_f32 v38, 0x3f167918, v16
	v_fmac_f32_e32 v59, 0xbf4f1bbd, v109
	v_fmac_f32_e32 v13, 0x3f4f1bbd, v110
	v_add_nc_u32_e32 v76, 0x2400, v42
	v_add_nc_u32_e32 v83, 0x1000, v42
	s_delay_alu instid0(VALU_DEP_4) | instskip(NEXT) | instid1(VALU_DEP_4)
	v_dual_sub_f32 v14, v69, v59 :: v_dual_add_nc_u32 v77, 0x1e00, v42
	v_add_f32_e32 v45, v72, v13
	v_dual_sub_f32 v57, v72, v13 :: v_dual_add_nc_u32 v118, 0x1e00, v103
	v_sub_f32_e32 v13, v9, v34
	v_mul_f32_e32 v9, 0xbf4f1bbd, v93
	v_add_nc_u32_e32 v84, 0x1200, v42
	v_dual_add_f32 v34, v43, v104 :: v_dual_add_nc_u32 v47, 0x1600, v42
	v_dual_sub_f32 v89, v90, v96 :: v_dual_add_nc_u32 v74, 0x1c00, v42
	s_delay_alu instid0(VALU_DEP_4)
	v_fmac_f32_e32 v9, 0x3f167918, v92
	v_add_nc_u32_e32 v3, 0xc00, v42
	v_add_nc_u32_e32 v80, 0x2800, v42
	v_sub_f32_e32 v91, v87, v94
	v_sub_f32_e32 v24, v24, v26
	v_add_f32_e32 v90, v85, v9
	v_sub_f32_e32 v87, v85, v9
	v_dual_add_f32 v9, v48, v34 :: v_dual_add_f32 v34, v37, v41
	v_sub_f32_e32 v37, v37, v33
	v_dual_add_f32 v33, v33, v39 :: v_dual_sub_f32 v18, v18, v28
	v_dual_sub_f32 v41, v41, v39 :: v_dual_sub_f32 v26, v19, v25
	s_delay_alu instid0(VALU_DEP_4) | instskip(NEXT) | instid1(VALU_DEP_3)
	v_fma_f32 v34, -0.5, v34, v15
	v_dual_fmac_f32 v15, -0.5, v33 :: v_dual_sub_f32 v28, v29, v27
	v_dual_add_f32 v55, v69, v59 :: v_dual_add_nc_u32 v82, 0x600, v42
	s_delay_alu instid0(VALU_DEP_3) | instskip(NEXT) | instid1(VALU_DEP_3)
	v_fmamk_f32 v39, v32, 0x3f737871, v34
	v_fmamk_f32 v33, v36, 0xbf737871, v15
	v_fmac_f32_e32 v15, 0x3f737871, v36
	v_fmac_f32_e32 v34, 0xbf737871, v32
	ds_store_2addr_b64 v118, v[44:45], v[51:52] offset1:1
	ds_store_2addr_b64 v119, v[55:56], v[57:58] offset1:1
	ds_store_b64 v103, v[53:54] offset:32
	ds_store_b64 v103, v[49:50] offset:3872
	;; [unrolled: 1-line block ×3, first 2 shown]
	v_fmac_f32_e32 v39, 0x3f167918, v36
	v_fmac_f32_e32 v33, 0x3f167918, v32
	;; [unrolled: 1-line block ×3, first 2 shown]
	v_mul_f32_e32 v32, 0x3f737871, v99
	v_dual_fmac_f32 v34, 0xbf167918, v36 :: v_dual_add_f32 v9, v46, v9
	v_fmac_f32_e32 v39, 0x3e9e377a, v30
	global_wb scope:SCOPE_SE
	s_wait_dscnt 0x0
	v_fmac_f32_e32 v32, 0x3e9e377a, v102
	v_dual_add_f32 v36, v37, v41 :: v_dual_add_nc_u32 v75, 0x200, v42
	v_fmac_f32_e32 v34, 0x3e9e377a, v30
	s_barrier_signal -1
	s_barrier_wait -1
	global_inv scope:SCOPE_SE
	v_fmac_f32_e32 v15, 0x3e9e377a, v36
	v_add_nc_u32_e32 v81, 0xa00, v42
	v_add_nc_u32_e32 v73, 0x1800, v42
	v_dual_add_f32 v92, v34, v38 :: v_dual_add_nc_u32 v41, 0x120, v5
	s_delay_alu instid0(VALU_DEP_4)
	v_add_f32_e32 v16, v15, v31
	v_dual_sub_f32 v30, v15, v31 :: v_dual_sub_f32 v31, v34, v38
	v_mul_f32_e32 v38, 0xbf4f1bbd, v113
	ds_load_b32 v20, v78
	ds_load_b32 v22, v42 offset:11136
	ds_load_2addr_b32 v[44:45], v42 offset1:96
	ds_load_2addr_b32 v[71:72], v82 offset0:96 offset1:192
	ds_load_2addr_b32 v[63:64], v3 offset0:96 offset1:192
	;; [unrolled: 1-line block ×12, first 2 shown]
	v_add_f32_e32 v34, v25, v27
	v_sub_f32_e32 v93, v17, v9
	v_and_b32_e32 v48, 0xffff, v41
	v_fmac_f32_e32 v38, 0x3f167918, v109
	v_dual_fmac_f32 v33, 0x3e9e377a, v36 :: v_dual_add_f32 v36, v17, v9
	v_add_f32_e32 v9, v35, v115
	v_mul_f32_e32 v35, 0xbe9e377a, v12
	v_fma_f32 v34, -0.5, v34, v10
	s_delay_alu instid0(VALU_DEP_4)
	v_add_f32_e32 v15, v33, v32
	v_sub_f32_e32 v33, v33, v32
	v_add_f32_e32 v9, v23, v9
	v_fmac_f32_e32 v35, 0x3f737871, v11
	v_mul_f32_e32 v37, 0x3f167918, v98
	v_add_nc_u16 v40, v5, 0x60
	v_and_b32_e32 v85, 0xffff, v7
	v_add_f32_e32 v9, v21, v9
	v_mul_f32_e32 v21, 0x3f167918, v110
	v_fmac_f32_e32 v37, 0x3f4f1bbd, v101
	v_add_nc_u32_e32 v79, 0x2200, v42
	v_and_b32_e32 v43, 0xff, v40
	s_delay_alu instid0(VALU_DEP_3)
	v_dual_fmac_f32 v21, 0x3f4f1bbd, v116 :: v_dual_sub_f32 v32, v39, v37
	v_add_f32_e32 v37, v39, v37
	v_add_f32_e32 v39, v10, v19
	ds_load_2addr_b32 v[57:58], v79 offset0:32 offset1:128
	global_wb scope:SCOPE_SE
	s_wait_dscnt 0x0
	s_barrier_signal -1
	s_barrier_wait -1
	v_add_f32_e32 v17, v39, v25
	v_sub_f32_e32 v25, v25, v19
	v_add_f32_e32 v19, v19, v29
	v_add_nc_u32_e32 v39, 0xc0, v5
	global_inv scope:SCOPE_SE
	ds_store_2addr_b64 v103, v[105:106], v[107:108] offset1:1
	ds_store_2addr_b64 v103, v[90:91], v[88:89] offset0:2 offset1:3
	v_fmac_f32_e32 v10, -0.5, v19
	v_fmamk_f32 v19, v18, 0x3f737871, v34
	v_fmac_f32_e32 v34, 0xbf737871, v18
	v_and_b32_e32 v46, 0xffff, v39
	v_add_f32_e32 v17, v17, v27
	v_fmamk_f32 v23, v24, 0xbf737871, v10
	v_dual_fmac_f32 v10, 0x3f737871, v24 :: v_dual_sub_f32 v27, v27, v29
	v_fmac_f32_e32 v19, 0x3f167918, v24
	s_delay_alu instid0(VALU_DEP_4) | instskip(NEXT) | instid1(VALU_DEP_4)
	v_add_f32_e32 v29, v17, v29
	v_fmac_f32_e32 v23, 0x3f167918, v18
	s_delay_alu instid0(VALU_DEP_4) | instskip(SKIP_4) | instid1(VALU_DEP_4)
	v_fmac_f32_e32 v10, 0xbf167918, v18
	v_dual_add_f32 v17, v26, v28 :: v_dual_and_b32 v18, 0xff, v5
	v_fmac_f32_e32 v34, 0xbf167918, v24
	v_add_f32_e32 v24, v25, v27
	v_mul_f32_e32 v25, 0x3f737871, v111
	v_mul_lo_u16 v12, 0xcd, v18
	v_fmac_f32_e32 v19, 0x3e9e377a, v17
	s_delay_alu instid0(VALU_DEP_4) | instskip(SKIP_1) | instid1(VALU_DEP_4)
	v_dual_fmac_f32 v34, 0x3e9e377a, v17 :: v_dual_fmac_f32 v23, 0x3e9e377a, v24
	v_fmac_f32_e32 v10, 0x3e9e377a, v24
	v_lshrrev_b16 v24, 11, v12
	v_fmac_f32_e32 v25, 0x3e9e377a, v117
	v_add_f32_e32 v18, v19, v21
	v_sub_f32_e32 v26, v19, v21
	v_mul_lo_u16 v21, 0xcd, v43
	v_mul_lo_u16 v19, v24, 10
	v_add_f32_e32 v11, v23, v25
	v_sub_f32_e32 v27, v23, v25
	v_dual_add_f32 v17, v29, v9 :: v_dual_add_f32 v12, v10, v35
	s_delay_alu instid0(VALU_DEP_4)
	v_sub_nc_u16 v23, v5, v19
	v_lshrrev_b16 v19, 11, v21
	ds_store_2addr_b64 v112, v[36:37], v[15:16] offset1:1
	ds_store_2addr_b64 v114, v[92:93], v[32:33] offset1:1
	v_mul_u32_u24_e32 v15, 0xcccd, v46
	v_sub_f32_e32 v29, v29, v9
	v_and_b32_e32 v25, 0xff, v23
	v_mul_lo_u16 v21, v19, 10
	v_add_f32_e32 v28, v34, v38
	ds_store_2addr_b64 v118, v[17:18], v[11:12] offset1:1
	ds_store_2addr_b64 v119, v[28:29], v[26:27] offset1:1
	v_mul_u32_u24_e32 v11, 5, v25
	v_sub_nc_u16 v12, v40, v21
	v_lshrrev_b32_e32 v21, 19, v15
	v_sub_f32_e32 v9, v10, v35
	v_sub_f32_e32 v10, v34, v38
	ds_store_b64 v103, v[86:87] offset:32
	ds_store_b64 v103, v[30:31] offset:3872
	;; [unrolled: 1-line block ×3, first 2 shown]
	v_lshlrev_b32_e32 v9, 3, v11
	v_mul_u32_u24_e32 v10, 0xcccd, v48
	v_mul_lo_u16 v11, v21, 10
	v_and_b32_e32 v28, 0xff, v12
	global_wb scope:SCOPE_SE
	s_wait_dscnt 0x0
	s_barrier_signal -1
	v_lshrrev_b32_e32 v17, 19, v10
	v_sub_nc_u16 v10, v39, v11
	v_mul_u32_u24_e32 v11, 5, v28
	s_barrier_wait -1
	global_inv scope:SCOPE_SE
	v_mul_lo_u16 v12, v17, 10
	v_and_b32_e32 v27, 0xffff, v10
	v_lshlrev_b32_e32 v11, 3, v11
	global_load_b128 v[30:33], v9, s[4:5]
	v_mul_u32_u24_e32 v10, 0xcccd, v85
	v_sub_nc_u16 v12, v41, v12
	v_mul_u32_u24_e32 v15, 5, v27
	global_load_b128 v[34:37], v11, s[4:5]
	v_and_b32_e32 v19, 0xffff, v19
	v_lshrrev_b32_e32 v18, 19, v10
	v_and_b32_e32 v26, 0xffff, v12
	v_lshlrev_b32_e32 v10, 3, v15
	v_mul_u32_u24_e32 v17, 0xf0, v17
	v_mul_u32_u24_e32 v19, 0xf0, v19
	v_mul_lo_u16 v12, v18, 10
	v_mul_u32_u24_e32 v15, 5, v26
	global_load_b128 v[95:98], v10, s[4:5]
	v_mul_u32_u24_e32 v21, 0xf0, v21
	v_mul_u32_u24_e32 v18, 0xf0, v18
	v_sub_nc_u16 v12, v7, v12
	v_lshlrev_b32_e32 v15, 3, v15
	v_lshlrev_b32_e32 v28, 2, v28
	;; [unrolled: 1-line block ×3, first 2 shown]
	s_delay_alu instid0(VALU_DEP_4) | instskip(SKIP_2) | instid1(VALU_DEP_1)
	v_and_b32_e32 v23, 0xffff, v12
	global_load_b128 v[99:102], v15, s[4:5]
	v_mul_u32_u24_e32 v12, 5, v23
	v_lshlrev_b32_e32 v29, 3, v12
	s_clause 0xa
	global_load_b128 v[103:106], v29, s[4:5]
	global_load_b128 v[107:110], v9, s[4:5] offset:16
	global_load_b128 v[111:114], v11, s[4:5] offset:16
	;; [unrolled: 1-line block ×5, first 2 shown]
	global_load_b64 v[127:128], v9, s[4:5] offset:32
	global_load_b64 v[129:130], v11, s[4:5] offset:32
	;; [unrolled: 1-line block ×5, first 2 shown]
	ds_load_2addr_b32 v[87:88], v82 offset0:96 offset1:192
	ds_load_2addr_b32 v[131:132], v3 offset0:96 offset1:192
	;; [unrolled: 1-line block ×5, first 2 shown]
	s_wait_loadcnt_dscnt 0xe04
	v_mul_f32_e32 v86, v87, v31
	v_mul_f32_e32 v31, v71, v31
	s_wait_dscnt 0x3
	v_mul_f32_e32 v29, v132, v33
	v_mul_f32_e32 v33, v64, v33
	s_wait_loadcnt_dscnt 0xd02
	v_mul_f32_e32 v92, v133, v37
	v_fmac_f32_e32 v86, v71, v30
	v_fma_f32 v87, v87, v30, -v31
	v_mul_f32_e32 v30, v72, v35
	v_fmac_f32_e32 v29, v64, v32
	v_fmac_f32_e32 v92, v69, v36
	v_mul_f32_e32 v31, v69, v37
	v_fma_f32 v89, v132, v32, -v33
	v_fma_f32 v93, v88, v34, -v30
	s_wait_loadcnt_dscnt 0xc01
	v_mul_f32_e32 v69, v135, v96
	v_mul_f32_e32 v91, v88, v35
	v_fma_f32 v94, v133, v36, -v31
	v_mul_f32_e32 v31, v67, v96
	v_mul_f32_e32 v71, v134, v98
	v_fmac_f32_e32 v69, v67, v95
	v_fmac_f32_e32 v91, v72, v34
	ds_load_2addr_b32 v[34:35], v74 offset0:32 offset1:128
	v_fma_f32 v67, v135, v95, -v31
	ds_load_2addr_b32 v[95:96], v77 offset0:96 offset1:192
	s_wait_loadcnt 0xb
	v_dual_mul_f32 v30, v70, v98 :: v_dual_mul_f32 v37, v136, v100
	ds_load_2addr_b32 v[32:33], v47 offset0:32 offset1:128
	v_dual_mul_f32 v36, v68, v100 :: v_dual_fmac_f32 v71, v70, v97
	v_fma_f32 v30, v134, v97, -v30
	s_wait_dscnt 0x3
	v_dual_mul_f32 v70, v137, v102 :: v_dual_fmac_f32 v37, v68, v99
	s_delay_alu instid0(VALU_DEP_3)
	v_fma_f32 v38, v136, v99, -v36
	ds_load_2addr_b32 v[97:98], v73 offset0:96 offset1:192
	ds_load_2addr_b32 v[99:100], v79 offset0:32 offset1:128
	v_mul_f32_e32 v31, v65, v102
	v_fmac_f32_e32 v70, v65, v101
	s_wait_loadcnt 0xa
	v_mul_f32_e32 v64, v131, v104
	v_dual_mul_f32 v36, v63, v104 :: v_dual_mul_f32 v65, v138, v106
	v_mul_f32_e32 v68, v66, v106
	v_fma_f32 v72, v137, v101, -v31
	s_delay_alu instid0(VALU_DEP_4)
	v_fmac_f32_e32 v64, v63, v103
	s_wait_loadcnt_dscnt 0x803
	v_mul_f32_e32 v90, v95, v114
	v_fma_f32 v63, v131, v103, -v36
	v_dual_mul_f32 v36, v61, v108 :: v_dual_mul_f32 v31, v35, v110
	s_wait_dscnt 0x2
	s_delay_alu instid0(VALU_DEP_3)
	v_dual_mul_f32 v103, v33, v112 :: v_dual_fmac_f32 v90, v59, v113
	v_fmac_f32_e32 v65, v66, v105
	v_fma_f32 v66, v138, v105, -v68
	v_mul_f32_e32 v68, v54, v110
	v_fma_f32 v102, v32, v107, -v36
	v_mul_f32_e32 v101, v32, v108
	v_dual_fmac_f32 v31, v54, v109 :: v_dual_mul_f32 v36, v59, v114
	s_delay_alu instid0(VALU_DEP_4)
	v_fma_f32 v32, v35, v109, -v68
	s_wait_loadcnt 0x7
	v_dual_mul_f32 v35, v62, v112 :: v_dual_mul_f32 v54, v60, v118
	v_fmac_f32_e32 v101, v61, v107
	s_wait_loadcnt_dscnt 0x601
	v_dual_mul_f32 v61, v96, v118 :: v_dual_mul_f32 v88, v98, v120
	s_delay_alu instid0(VALU_DEP_3)
	v_fma_f32 v104, v33, v111, -v35
	v_fma_f32 v59, v96, v117, -v54
	s_wait_loadcnt_dscnt 0x500
	v_dual_mul_f32 v33, v55, v116 :: v_dual_mul_f32 v54, v100, v126
	v_fmac_f32_e32 v103, v62, v111
	v_fma_f32 v62, v95, v113, -v36
	ds_load_2addr_b32 v[95:96], v76 offset0:96 offset1:192
	v_mul_f32_e32 v36, v56, v120
	v_dual_fmac_f32 v61, v60, v117 :: v_dual_mul_f32 v60, v97, v116
	v_fma_f32 v68, v97, v115, -v33
	v_fmac_f32_e32 v88, v56, v119
	s_delay_alu instid0(VALU_DEP_4)
	v_fma_f32 v56, v98, v119, -v36
	ds_load_2addr_b32 v[97:98], v80 offset0:32 offset1:128
	v_mul_f32_e32 v35, v99, v122
	v_mul_f32_e32 v36, v57, v122
	v_dual_fmac_f32 v60, v55, v115 :: v_dual_mul_f32 v33, v34, v124
	v_fmac_f32_e32 v54, v58, v125
	s_delay_alu instid0(VALU_DEP_4)
	v_fmac_f32_e32 v35, v57, v121
	v_mul_f32_e32 v57, v53, v124
	v_fma_f32 v55, v99, v121, -v36
	v_mul_f32_e32 v36, v58, v126
	s_wait_loadcnt 0x4
	v_mul_f32_e32 v58, v51, v128
	ds_load_b32 v105, v42 offset:11136
	v_fmac_f32_e32 v33, v53, v123
	s_wait_loadcnt_dscnt 0x302
	v_mul_f32_e32 v99, v96, v130
	v_fma_f32 v34, v34, v123, -v57
	v_mul_f32_e32 v106, v52, v130
	v_fma_f32 v53, v100, v125, -v36
	v_fma_f32 v36, v95, v127, -v58
	s_wait_loadcnt 0x2
	v_dual_fmac_f32 v99, v52, v129 :: v_dual_mul_f32 v58, v49, v12
	s_wait_dscnt 0x1
	v_mul_f32_e32 v52, v97, v12
	s_wait_loadcnt 0x1
	v_mul_f32_e32 v12, v98, v16
	v_mul_f32_e32 v16, v50, v16
	v_add_f32_e32 v100, v45, v92
	v_dual_mul_f32 v57, v95, v128 :: v_dual_fmac_f32 v52, v49, v11
	v_fma_f32 v49, v97, v11, -v58
	v_fmac_f32_e32 v12, v50, v15
	v_fma_f32 v50, v98, v15, -v16
	v_add_f32_e32 v58, v92, v90
	ds_load_2addr_b32 v[15:16], v42 offset1:96
	v_sub_f32_e32 v92, v92, v90
	v_dual_add_f32 v90, v100, v90 :: v_dual_fmac_f32 v57, v51, v127
	v_fma_f32 v51, v96, v129, -v106
	v_dual_add_f32 v97, v103, v99 :: v_dual_add_f32 v98, v93, v104
	ds_load_b32 v95, v78
	s_wait_loadcnt_dscnt 0x2
	v_dual_mul_f32 v96, v105, v10 :: v_dual_add_f32 v11, v104, v51
	v_mul_f32_e32 v10, v22, v10
	v_add_f32_e32 v106, v94, v62
	s_delay_alu instid0(VALU_DEP_3) | instskip(NEXT) | instid1(VALU_DEP_4)
	v_dual_fmac_f32 v45, -0.5, v58 :: v_dual_fmac_f32 v96, v22, v9
	v_fmac_f32_e32 v93, -0.5, v11
	v_sub_f32_e32 v11, v103, v99
	v_add_f32_e32 v103, v91, v103
	v_fmac_f32_e32 v91, -0.5, v97
	v_sub_f32_e32 v97, v104, v51
	v_fma_f32 v105, v105, v9, -v10
	v_fmamk_f32 v104, v11, 0x3f5db3d7, v93
	v_fmac_f32_e32 v93, 0xbf5db3d7, v11
	s_delay_alu instid0(VALU_DEP_4) | instskip(SKIP_2) | instid1(VALU_DEP_3)
	v_dual_sub_f32 v11, v94, v62 :: v_dual_fmamk_f32 v58, v97, 0xbf5db3d7, v91
	s_wait_dscnt 0x1
	v_dual_fmac_f32 v91, 0x3f5db3d7, v97 :: v_dual_add_f32 v94, v16, v94
	v_dual_mul_f32 v97, 0xbf5db3d7, v93 :: v_dual_fmac_f32 v16, -0.5, v106
	v_dual_mul_f32 v9, -0.5, v93 :: v_dual_add_f32 v10, v89, v32
	v_mul_f32_e32 v100, 0xbf5db3d7, v104
	v_fmamk_f32 v22, v11, 0xbf5db3d7, v45
	s_delay_alu instid0(VALU_DEP_4) | instskip(SKIP_1) | instid1(VALU_DEP_4)
	v_dual_fmac_f32 v45, 0x3f5db3d7, v11 :: v_dual_fmamk_f32 v106, v92, 0x3f5db3d7, v16
	v_fmac_f32_e32 v16, 0xbf5db3d7, v92
	v_dual_fmac_f32 v9, 0x3f5db3d7, v91 :: v_dual_fmac_f32 v100, 0.5, v58
	v_fmac_f32_e32 v97, -0.5, v91
	v_fma_f32 v91, -0.5, v10, v15
	v_add_f32_e32 v10, v102, v36
	s_delay_alu instid0(VALU_DEP_4)
	v_add_f32_e32 v92, v16, v9
	v_add_f32_e32 v15, v15, v89
	;; [unrolled: 1-line block ×3, first 2 shown]
	v_sub_f32_e32 v45, v45, v97
	v_dual_sub_f32 v97, v16, v9 :: v_dual_add_f32 v16, v87, v102
	v_dual_fmac_f32 v87, -0.5, v10 :: v_dual_and_b32 v10, 0xffff, v24
	v_add_f32_e32 v11, v29, v31
	v_sub_f32_e32 v89, v89, v32
	v_dual_add_f32 v99, v103, v99 :: v_dual_add_f32 v62, v94, v62
	v_lshlrev_b32_e32 v27, 2, v27
	s_delay_alu instid0(VALU_DEP_4) | instskip(SKIP_4) | instid1(VALU_DEP_4)
	v_fma_f32 v11, -0.5, v11, v44
	v_add_f32_e32 v44, v44, v29
	v_add_f32_e32 v9, v101, v57
	v_sub_f32_e32 v107, v101, v57
	v_add_f32_e32 v24, v86, v101
	v_dual_sub_f32 v101, v102, v36 :: v_dual_add_f32 v44, v44, v31
	s_delay_alu instid0(VALU_DEP_4) | instskip(NEXT) | instid1(VALU_DEP_4)
	v_fmac_f32_e32 v86, -0.5, v9
	v_fmamk_f32 v102, v107, 0x3f5db3d7, v87
	v_fmac_f32_e32 v87, 0xbf5db3d7, v107
	v_mul_u32_u24_e32 v9, 0xf0, v10
	s_delay_alu instid0(VALU_DEP_4)
	v_dual_fmamk_f32 v25, v101, 0xbf5db3d7, v86 :: v_dual_lshlrev_b32 v10, 2, v25
	v_fmamk_f32 v107, v89, 0xbf5db3d7, v11
	v_fmac_f32_e32 v11, 0x3f5db3d7, v89
	v_fmac_f32_e32 v86, 0x3f5db3d7, v101
	v_dual_mul_f32 v89, 0xbf5db3d7, v87 :: v_dual_mul_f32 v108, 0xbf5db3d7, v102
	v_add_f32_e32 v24, v24, v57
	v_add3_u32 v57, 0, v9, v10
	ds_load_2addr_b32 v[9:10], v75 offset0:64 offset1:160
	v_fmac_f32_e32 v89, -0.5, v86
	global_wb scope:SCOPE_SE
	s_wait_dscnt 0x0
	v_add_f32_e32 v101, v44, v24
	v_sub_f32_e32 v24, v44, v24
	s_barrier_signal -1
	v_add_f32_e32 v103, v11, v89
	v_sub_f32_e32 v11, v11, v89
	v_add3_u32 v89, 0, v19, v28
	v_add_f32_e32 v28, v22, v100
	v_sub_f32_e32 v22, v22, v100
	v_add_f32_e32 v100, v67, v68
	v_dual_fmac_f32 v108, 0.5, v25 :: v_dual_add_f32 v19, v90, v99
	s_barrier_wait -1
	global_inv scope:SCOPE_SE
	v_add_f32_e32 v109, v63, v34
	v_add_f32_e32 v44, v107, v108
	v_sub_f32_e32 v107, v107, v108
	v_add_f32_e32 v108, v16, v36
	v_add_f32_e32 v16, v33, v96
	v_mul_lo_u16 v43, 0x89, v43
	ds_store_2addr_b32 v57, v101, v44 offset1:10
	ds_store_2addr_b32 v57, v103, v24 offset0:20 offset1:30
	ds_store_2addr_b32 v57, v107, v11 offset0:40 offset1:50
	ds_store_2addr_b32 v89, v19, v28 offset1:10
	v_dual_add_f32 v11, v56, v50 :: v_dual_sub_f32 v44, v90, v99
	v_add_f32_e32 v24, v88, v12
	v_add_f32_e32 v90, v38, v56
	;; [unrolled: 1-line block ×3, first 2 shown]
	s_delay_alu instid0(VALU_DEP_4)
	v_dual_fmac_f32 v38, -0.5, v11 :: v_dual_sub_f32 v11, v88, v12
	ds_store_2addr_b32 v89, v93, v44 offset0:20 offset1:30
	v_add_f32_e32 v28, v14, v70
	v_add_f32_e32 v44, v37, v88
	v_dual_fmac_f32 v37, -0.5, v24 :: v_dual_sub_f32 v24, v56, v50
	v_fmamk_f32 v56, v11, 0x3f5db3d7, v38
	v_fmac_f32_e32 v38, 0xbf5db3d7, v11
	v_fmac_f32_e32 v14, -0.5, v19
	v_sub_f32_e32 v11, v72, v55
	v_fmamk_f32 v88, v24, 0xbf5db3d7, v37
	v_dual_fmac_f32 v37, 0x3f5db3d7, v24 :: v_dual_add_f32 v28, v28, v35
	v_dual_add_f32 v12, v44, v12 :: v_dual_mul_f32 v19, 0xbf5db3d7, v38
	s_delay_alu instid0(VALU_DEP_4) | instskip(SKIP_2) | instid1(VALU_DEP_4)
	v_dual_fmamk_f32 v24, v11, 0xbf5db3d7, v14 :: v_dual_add_f32 v93, v72, v55
	v_fmac_f32_e32 v14, 0x3f5db3d7, v11
	v_add3_u32 v103, 0, v17, v26
	v_add_f32_e32 v17, v28, v12
	v_dual_sub_f32 v12, v28, v12 :: v_dual_fmac_f32 v19, -0.5, v37
	v_dual_add_f32 v11, v71, v61 :: v_dual_add_f32 v72, v10, v72
	v_fmac_f32_e32 v10, -0.5, v93
	v_sub_f32_e32 v70, v70, v35
	ds_store_2addr_b32 v89, v22, v45 offset0:40 offset1:50
	v_mul_f32_e32 v22, -0.5, v38
	v_add_f32_e32 v38, v14, v19
	v_add_f32_e32 v45, v30, v59
	v_dual_sub_f32 v14, v14, v19 :: v_dual_add_f32 v19, v68, v49
	v_sub_f32_e32 v107, v29, v31
	v_fma_f32 v11, -0.5, v11, v13
	v_fmamk_f32 v93, v70, 0x3f5db3d7, v10
	v_fmac_f32_e32 v10, 0xbf5db3d7, v70
	v_dual_fmac_f32 v22, 0x3f5db3d7, v37 :: v_dual_add_f32 v13, v13, v71
	v_fmamk_f32 v112, v107, 0x3f5db3d7, v91
	v_fma_f32 v70, -0.5, v45, v9
	v_add_f32_e32 v45, v69, v60
	v_fmac_f32_e32 v67, -0.5, v19
	v_sub_f32_e32 v19, v60, v52
	v_fmac_f32_e32 v91, 0xbf5db3d7, v107
	v_add_f32_e32 v37, v60, v52
	v_add_f32_e32 v99, v10, v22
	v_sub_f32_e32 v60, v10, v22
	v_add_f32_e32 v10, v45, v52
	v_sub_f32_e32 v22, v68, v49
	v_fmac_f32_e32 v69, -0.5, v37
	v_dual_fmamk_f32 v52, v19, 0x3f5db3d7, v67 :: v_dual_mul_f32 v87, -0.5, v87
	v_fmac_f32_e32 v67, 0xbf5db3d7, v19
	v_sub_f32_e32 v37, v30, v59
	s_delay_alu instid0(VALU_DEP_4)
	v_fmamk_f32 v68, v22, 0xbf5db3d7, v69
	v_fmac_f32_e32 v69, 0x3f5db3d7, v22
	v_fmac_f32_e32 v87, 0x3f5db3d7, v86
	v_dual_mul_f32 v19, 0xbf5db3d7, v52 :: v_dual_mul_f32 v22, 0xbf5db3d7, v67
	v_add_f32_e32 v13, v13, v61
	v_sub_f32_e32 v61, v71, v61
	v_dual_fmamk_f32 v45, v37, 0xbf5db3d7, v11 :: v_dual_mul_f32 v52, 0.5, v52
	v_fmac_f32_e32 v11, 0x3f5db3d7, v37
	v_mul_f32_e32 v37, 0xbf5db3d7, v56
	v_fmac_f32_e32 v19, 0.5, v68
	v_dual_add_f32 v9, v9, v30 :: v_dual_fmac_f32 v22, -0.5, v69
	v_add3_u32 v101, 0, v21, v27
	s_delay_alu instid0(VALU_DEP_4) | instskip(NEXT) | instid1(VALU_DEP_4)
	v_fmac_f32_e32 v37, 0.5, v88
	v_dual_add_f32 v27, v45, v19 :: v_dual_add_f32 v50, v90, v50
	s_delay_alu instid0(VALU_DEP_4) | instskip(SKIP_3) | instid1(VALU_DEP_3)
	v_add_f32_e32 v9, v9, v59
	v_dual_add_f32 v49, v100, v49 :: v_dual_fmac_f32 v52, 0x3f5db3d7, v68
	v_add_f32_e32 v21, v13, v10
	v_sub_f32_e32 v10, v13, v10
	v_dual_add_f32 v13, v11, v22 :: v_dual_sub_f32 v68, v9, v49
	v_sub_f32_e32 v11, v11, v22
	v_add_f32_e32 v55, v72, v55
	v_dual_sub_f32 v19, v45, v19 :: v_dual_add_f32 v22, v24, v37
	ds_store_2addr_b32 v101, v21, v27 offset1:10
	ds_store_2addr_b32 v101, v13, v10 offset0:20 offset1:30
	ds_store_2addr_b32 v101, v19, v11 offset0:40 offset1:50
	ds_store_2addr_b32 v103, v17, v22 offset1:10
	v_mul_f32_e32 v10, 0.5, v102
	v_dual_add_f32 v102, v15, v32 :: v_dual_add_f32 v15, v34, v105
	v_add_f32_e32 v11, v65, v54
	v_add_f32_e32 v21, v64, v33
	s_delay_alu instid0(VALU_DEP_4) | instskip(NEXT) | instid1(VALU_DEP_4)
	v_fmac_f32_e32 v10, 0x3f5db3d7, v25
	v_dual_fmac_f32 v64, -0.5, v16 :: v_dual_fmac_f32 v63, -0.5, v15
	v_dual_sub_f32 v15, v33, v96 :: v_dual_sub_f32 v16, v34, v105
	v_dual_add_f32 v13, v20, v65 :: v_dual_fmac_f32 v20, -0.5, v11
	s_delay_alu instid0(VALU_DEP_2)
	v_dual_sub_f32 v11, v66, v53 :: v_dual_fmamk_f32 v110, v15, 0x3f5db3d7, v63
	v_fmac_f32_e32 v63, 0xbf5db3d7, v15
	v_add_f32_e32 v107, v112, v10
	v_dual_sub_f32 v10, v112, v10 :: v_dual_mul_f32 v59, -0.5, v67
	v_dual_add_f32 v21, v21, v96 :: v_dual_fmamk_f32 v96, v16, 0xbf5db3d7, v64
	v_mul_f32_e32 v15, 0xbf5db3d7, v110
	v_fmamk_f32 v19, v11, 0xbf5db3d7, v20
	v_fmac_f32_e32 v20, 0x3f5db3d7, v11
	v_fmac_f32_e32 v64, 0x3f5db3d7, v16
	v_mul_f32_e32 v11, 0xbf5db3d7, v63
	v_fmamk_f32 v67, v61, 0x3f5db3d7, v70
	v_fmac_f32_e32 v70, 0xbf5db3d7, v61
	v_fmac_f32_e32 v59, 0x3f5db3d7, v69
	v_add_f32_e32 v61, v9, v49
	v_mul_f32_e32 v49, 0.5, v56
	v_add_f32_e32 v13, v13, v54
	v_dual_fmac_f32 v15, 0.5, v96 :: v_dual_lshlrev_b32 v22, 2, v23
	v_fmac_f32_e32 v11, -0.5, v64
	v_add_f32_e32 v86, v102, v108
	v_add_f32_e32 v9, v67, v52
	v_dual_sub_f32 v52, v67, v52 :: v_dual_add_f32 v67, v70, v59
	v_sub_f32_e32 v56, v70, v59
	v_add_f32_e32 v59, v66, v53
	v_dual_fmac_f32 v49, 0x3f5db3d7, v88 :: v_dual_add_f32 v66, v95, v66
	v_sub_f32_e32 v17, v24, v37
	v_add_f32_e32 v16, v13, v21
	v_sub_f32_e32 v13, v13, v21
	v_add_f32_e32 v21, v19, v15
	v_add3_u32 v111, 0, v18, v22
	v_add_f32_e32 v18, v20, v11
	v_sub_f32_e32 v15, v19, v15
	v_sub_f32_e32 v11, v20, v11
	ds_store_2addr_b32 v103, v38, v12 offset0:20 offset1:30
	ds_store_2addr_b32 v103, v17, v14 offset0:40 offset1:50
	ds_store_2addr_b32 v111, v16, v21 offset1:10
	ds_store_2addr_b32 v111, v18, v13 offset0:20 offset1:30
	ds_store_2addr_b32 v111, v15, v11 offset0:40 offset1:50
	global_wb scope:SCOPE_SE
	s_wait_dscnt 0x0
	s_barrier_signal -1
	s_barrier_wait -1
	global_inv scope:SCOPE_SE
	ds_load_2addr_b32 v[13:14], v42 offset1:96
	ds_load_2addr_b32 v[33:34], v82 offset0:96 offset1:192
	ds_load_2addr_b32 v[29:30], v3 offset0:96 offset1:192
	;; [unrolled: 1-line block ×3, first 2 shown]
	ds_load_b32 v44, v78
	ds_load_b32 v45, v42 offset:11136
	ds_load_2addr_b32 v[19:20], v74 offset0:32 offset1:128
	ds_load_2addr_b32 v[17:18], v76 offset0:96 offset1:192
	;; [unrolled: 1-line block ×10, first 2 shown]
	global_wb scope:SCOPE_SE
	s_wait_dscnt 0x0
	s_barrier_signal -1
	s_barrier_wait -1
	global_inv scope:SCOPE_SE
	ds_store_2addr_b32 v57, v86, v107 offset1:10
	v_dual_mul_f32 v86, 0.5, v104 :: v_dual_fmac_f32 v95, -0.5, v59
	v_sub_f32_e32 v54, v65, v54
	v_add_f32_e32 v59, v55, v50
	v_dual_sub_f32 v50, v55, v50 :: v_dual_add_f32 v55, v93, v49
	v_sub_f32_e32 v65, v93, v49
	v_mul_f32_e32 v49, 0.5, v110
	v_add_f32_e32 v53, v66, v53
	v_dual_mul_f32 v63, -0.5, v63 :: v_dual_add_f32 v66, v109, v105
	v_dual_add_f32 v51, v98, v51 :: v_dual_fmac_f32 v86, 0x3f5db3d7, v58
	v_fmamk_f32 v69, v54, 0x3f5db3d7, v95
	v_fmac_f32_e32 v49, 0x3f5db3d7, v96
	v_fmac_f32_e32 v95, 0xbf5db3d7, v54
	v_dual_fmac_f32 v63, 0x3f5db3d7, v64 :: v_dual_add_f32 v54, v53, v66
	v_sub_f32_e32 v64, v53, v66
	v_subrev_nc_u32_e32 v53, 60, v5
	v_sub_f32_e32 v102, v102, v108
	v_add_f32_e32 v108, v91, v87
	v_sub_f32_e32 v58, v91, v87
	v_add_f32_e32 v71, v62, v51
	v_sub_f32_e32 v51, v62, v51
	v_add_f32_e32 v62, v106, v86
	v_add_f32_e32 v66, v69, v49
	v_sub_f32_e32 v69, v69, v49
	s_wait_alu 0xf1ff
	v_cndmask_b32_e64 v49, v53, v5, s0
	v_sub_f32_e32 v86, v106, v86
	ds_store_2addr_b32 v57, v108, v102 offset0:20 offset1:30
	ds_store_2addr_b32 v57, v10, v58 offset0:40 offset1:50
	ds_store_2addr_b32 v89, v71, v62 offset1:10
	ds_store_2addr_b32 v89, v92, v51 offset0:20 offset1:30
	ds_store_2addr_b32 v89, v86, v97 offset0:40 offset1:50
	ds_store_2addr_b32 v101, v61, v9 offset1:10
	v_mul_i32_i24_e32 v9, 5, v49
	v_mov_b32_e32 v10, 0
	v_lshrrev_b16 v51, 13, v43
	ds_store_2addr_b32 v101, v67, v68 offset0:20 offset1:30
	ds_store_2addr_b32 v101, v52, v56 offset0:40 offset1:50
	ds_store_2addr_b32 v103, v59, v55 offset1:10
	ds_store_2addr_b32 v103, v99, v50 offset0:20 offset1:30
	v_mul_u32_u24_e32 v43, 0x8889, v46
	v_lshlrev_b64_e32 v[52:53], 3, v[9:10]
	v_mul_lo_u16 v9, v51, 60
	v_add_f32_e32 v70, v95, v63
	v_sub_f32_e32 v63, v95, v63
	ds_store_2addr_b32 v103, v65, v60 offset0:40 offset1:50
	ds_store_2addr_b32 v111, v54, v66 offset1:10
	ds_store_2addr_b32 v111, v70, v64 offset0:20 offset1:30
	ds_store_2addr_b32 v111, v69, v63 offset0:40 offset1:50
	v_sub_nc_u16 v40, v40, v9
	v_lshrrev_b32_e32 v9, 21, v43
	v_add_co_u32 v56, s0, s4, v52
	s_wait_alu 0xf1ff
	v_add_co_ci_u32_e64 v57, s0, s5, v53, s0
	v_and_b32_e32 v86, 0xff, v40
	v_mul_lo_u16 v40, v9, 60
	v_mul_u32_u24_e32 v43, 0x8889, v48
	v_mul_u32_u24_e32 v48, 0x8889, v85
	global_wb scope:SCOPE_SE
	s_wait_dscnt 0x0
	v_mul_u32_u24_e32 v46, 5, v86
	v_sub_nc_u16 v39, v39, v40
	s_barrier_signal -1
	s_barrier_wait -1
	global_inv scope:SCOPE_SE
	global_load_b128 v[52:55], v[56:57], off offset:400
	v_and_b32_e32 v63, 0xffff, v39
	v_lshlrev_b32_e32 v39, 3, v46
	v_lshrrev_b32_e32 v46, 21, v48
	v_lshrrev_b32_e32 v43, 21, v43
	v_cmp_lt_u32_e64 s0, 59, v5
	v_mul_u32_u24_e32 v48, 5, v63
	global_load_b128 v[87:90], v39, s[4:5] offset:400
	v_mul_u32_u24_e32 v9, 0x5a0, v9
	v_mul_lo_u16 v40, v43, 60
	v_lshlrev_b32_e32 v50, 3, v48
	s_delay_alu instid0(VALU_DEP_2) | instskip(SKIP_3) | instid1(VALU_DEP_2)
	v_sub_nc_u16 v40, v41, v40
	global_load_b128 v[94:97], v50, s[4:5] offset:400
	v_and_b32_e32 v58, 0xffff, v40
	v_mul_lo_u16 v40, v46, 60
	v_mul_u32_u24_e32 v59, 5, v58
	s_delay_alu instid0(VALU_DEP_2) | instskip(NEXT) | instid1(VALU_DEP_1)
	v_sub_nc_u16 v40, v7, v40
	v_and_b32_e32 v48, 0xffff, v40
	s_delay_alu instid0(VALU_DEP_3) | instskip(NEXT) | instid1(VALU_DEP_2)
	v_lshlrev_b32_e32 v40, 3, v59
	v_mul_u32_u24_e32 v59, 5, v48
	global_load_b128 v[98:101], v40, s[4:5] offset:400
	v_lshlrev_b32_e32 v59, 3, v59
	s_clause 0xa
	global_load_b128 v[102:105], v59, s[4:5] offset:400
	global_load_b128 v[106:109], v[56:57], off offset:416
	global_load_b128 v[110:113], v39, s[4:5] offset:416
	global_load_b128 v[114:117], v50, s[4:5] offset:416
	;; [unrolled: 1-line block ×4, first 2 shown]
	global_load_b64 v[126:127], v[56:57], off offset:432
	global_load_b64 v[128:129], v39, s[4:5] offset:432
	global_load_b64 v[130:131], v50, s[4:5] offset:432
	;; [unrolled: 1-line block ×4, first 2 shown]
	ds_load_2addr_b32 v[56:57], v82 offset0:96 offset1:192
	ds_load_2addr_b32 v[91:92], v3 offset0:96 offset1:192
	;; [unrolled: 1-line block ×5, first 2 shown]
	s_wait_loadcnt_dscnt 0xe04
	v_mul_f32_e32 v67, v56, v53
	s_wait_dscnt 0x3
	v_dual_mul_f32 v50, v33, v53 :: v_dual_mul_f32 v93, v92, v55
	s_delay_alu instid0(VALU_DEP_1) | instskip(NEXT) | instid1(VALU_DEP_3)
	v_fma_f32 v70, v56, v52, -v50
	v_fmac_f32_e32 v67, v33, v52
	s_wait_loadcnt 0xd
	v_mul_f32_e32 v60, v57, v88
	v_mul_f32_e32 v33, v34, v88
	s_wait_dscnt 0x2
	v_dual_mul_f32 v53, v30, v55 :: v_dual_mul_f32 v62, v65, v90
	s_delay_alu instid0(VALU_DEP_3)
	v_fmac_f32_e32 v60, v34, v87
	v_mul_f32_e32 v34, v37, v90
	v_fma_f32 v64, v57, v87, -v33
	s_wait_loadcnt 0xc
	v_mul_f32_e32 v33, v38, v97
	v_dual_mul_f32 v55, v66, v97 :: v_dual_mul_f32 v50, v35, v95
	v_fma_f32 v68, v65, v89, -v34
	v_fmac_f32_e32 v62, v37, v89
	s_delay_alu instid0(VALU_DEP_4)
	v_fma_f32 v59, v66, v96, -v33
	ds_load_2addr_b32 v[33:34], v47 offset0:32 offset1:128
	v_fmac_f32_e32 v55, v38, v96
	s_wait_dscnt 0x2
	v_fma_f32 v56, v71, v94, -v50
	ds_load_2addr_b32 v[37:38], v74 offset0:32 offset1:128
	s_wait_loadcnt 0xa
	v_mul_f32_e32 v57, v29, v103
	s_wait_dscnt 0x2
	v_dual_mul_f32 v61, v72, v99 :: v_dual_mul_f32 v66, v83, v101
	s_wait_loadcnt 0x9
	v_dual_mul_f32 v52, v31, v101 :: v_dual_mul_f32 v69, v25, v107
	s_delay_alu instid0(VALU_DEP_2)
	v_dual_mul_f32 v50, v91, v103 :: v_dual_fmac_f32 v61, v36, v98
	s_wait_dscnt 0x1
	v_mul_f32_e32 v96, v33, v107
	v_fmac_f32_e32 v66, v31, v100
	v_fma_f32 v97, v33, v106, -v69
	s_wait_loadcnt 0x8
	v_dual_mul_f32 v33, v27, v113 :: v_dual_fmac_f32 v50, v29, v102
	v_fmac_f32_e32 v96, v25, v106
	v_fmac_f32_e32 v93, v30, v54
	v_fma_f32 v30, v92, v54, -v53
	v_dual_mul_f32 v53, v71, v95 :: v_dual_mul_f32 v54, v84, v105
	v_fma_f32 v71, v83, v100, -v52
	v_fma_f32 v52, v91, v102, -v57
	v_mul_f32_e32 v57, v32, v105
	s_delay_alu instid0(VALU_DEP_4)
	v_fmac_f32_e32 v53, v35, v94
	v_mul_f32_e32 v35, v36, v99
	v_fmac_f32_e32 v54, v32, v104
	ds_load_2addr_b32 v[31:32], v73 offset0:96 offset1:192
	ds_load_2addr_b32 v[94:95], v79 offset0:32 offset1:128
	v_fma_f32 v57, v84, v104, -v57
	v_fma_f32 v65, v72, v98, -v35
	ds_load_2addr_b32 v[35:36], v77 offset0:96 offset1:192
	v_mul_f32_e32 v98, v34, v111
	v_dual_mul_f32 v25, v26, v111 :: v_dual_mul_f32 v72, v20, v109
	ds_load_b32 v99, v78
	v_fmac_f32_e32 v98, v26, v110
	s_wait_loadcnt 0x7
	v_mul_f32_e32 v26, v28, v117
	s_wait_dscnt 0x1
	v_mul_f32_e32 v89, v35, v113
	v_mul_f32_e32 v84, v36, v117
	v_fma_f32 v87, v35, v112, -v33
	v_mul_f32_e32 v35, v23, v115
	v_fma_f32 v85, v36, v116, -v26
	v_fmac_f32_e32 v89, v27, v112
	s_wait_loadcnt 0x6
	v_mul_f32_e32 v27, v32, v119
	v_fmac_f32_e32 v84, v28, v116
	v_mul_f32_e32 v28, v21, v121
	v_fma_f32 v26, v31, v114, -v35
	ds_load_2addr_b32 v[35:36], v80 offset0:32 offset1:128
	v_mul_f32_e32 v91, v94, v121
	v_add_f32_e32 v121, v68, v87
	v_fma_f32 v83, v94, v120, -v28
	v_fmac_f32_e32 v27, v24, v118
	v_mul_f32_e32 v24, v24, v119
	s_delay_alu instid0(VALU_DEP_1) | instskip(SKIP_2) | instid1(VALU_DEP_1)
	v_fma_f32 v24, v32, v118, -v24
	s_wait_loadcnt 0x4
	v_dual_mul_f32 v29, v38, v109 :: v_dual_mul_f32 v32, v17, v127
	v_fmac_f32_e32 v29, v20, v108
	v_fma_f32 v20, v38, v108, -v72
	v_fma_f32 v38, v34, v110, -v25
	ds_load_2addr_b32 v[33:34], v76 offset0:96 offset1:192
	v_mul_f32_e32 v25, v31, v115
	v_mul_f32_e32 v31, v19, v123
	;; [unrolled: 1-line block ×3, first 2 shown]
	v_add_f32_e32 v108, v56, v26
	v_add_f32_e32 v100, v64, v38
	v_fmac_f32_e32 v25, v23, v114
	s_delay_alu instid0(VALU_DEP_4) | instskip(SKIP_2) | instid1(VALU_DEP_1)
	v_dual_mul_f32 v23, v37, v123 :: v_dual_fmac_f32 v72, v22, v124
	s_wait_dscnt 0x0
	v_mul_f32_e32 v28, v33, v127
	v_fmac_f32_e32 v28, v17, v126
	v_fma_f32 v17, v33, v126, -v32
	s_wait_loadcnt 0x1
	v_dual_mul_f32 v32, v15, v131 :: v_dual_mul_f32 v33, v16, v133
	s_delay_alu instid0(VALU_DEP_1)
	v_fma_f32 v90, v35, v130, -v32
	v_fmac_f32_e32 v91, v21, v120
	v_mul_f32_e32 v21, v22, v125
	v_mul_f32_e32 v22, v18, v129
	v_fma_f32 v88, v36, v132, -v33
	v_add_f32_e32 v33, v14, v62
	s_delay_alu instid0(VALU_DEP_4) | instskip(SKIP_4) | instid1(VALU_DEP_4)
	v_fma_f32 v69, v95, v124, -v21
	v_mul_f32_e32 v21, v35, v131
	v_fma_f32 v92, v34, v128, -v22
	v_add_f32_e32 v22, v62, v89
	v_add_f32_e32 v33, v33, v89
	v_fmac_f32_e32 v21, v15, v130
	v_fmac_f32_e32 v23, v19, v122
	v_fma_f32 v19, v37, v122, -v31
	v_mul_f32_e32 v37, v34, v129
	ds_load_b32 v31, v42 offset:11136
	v_add_f32_e32 v34, v60, v98
	v_fmac_f32_e32 v14, -0.5, v22
	v_dual_add_f32 v116, v52, v19 :: v_dual_fmac_f32 v37, v18, v128
	v_mul_f32_e32 v18, v36, v133
	v_add_f32_e32 v36, v97, v17
	s_delay_alu instid0(VALU_DEP_3) | instskip(NEXT) | instid1(VALU_DEP_3)
	v_add_f32_e32 v32, v98, v37
	v_fmac_f32_e32 v18, v16, v132
	v_add_f32_e32 v15, v38, v92
	v_add_f32_e32 v34, v34, v37
	s_delay_alu instid0(VALU_DEP_4) | instskip(SKIP_1) | instid1(VALU_DEP_4)
	v_fmac_f32_e32 v60, -0.5, v32
	v_sub_f32_e32 v32, v38, v92
	v_dual_fmac_f32 v64, -0.5, v15 :: v_dual_sub_f32 v15, v98, v37
	s_delay_alu instid0(VALU_DEP_2)
	v_fmamk_f32 v101, v32, 0xbf5db3d7, v60
	v_fmac_f32_e32 v60, 0x3f5db3d7, v32
	s_wait_loadcnt 0x0
	v_mul_f32_e32 v32, v45, v40
	v_fmamk_f32 v98, v15, 0x3f5db3d7, v64
	v_fmac_f32_e32 v64, 0xbf5db3d7, v15
	s_wait_dscnt 0x0
	v_dual_sub_f32 v15, v68, v87 :: v_dual_mul_f32 v16, v31, v40
	v_fma_f32 v102, v31, v39, -v32
	v_dual_add_f32 v31, v96, v28 :: v_dual_add_f32 v32, v70, v97
	v_fmac_f32_e32 v70, -0.5, v36
	s_delay_alu instid0(VALU_DEP_4) | instskip(SKIP_3) | instid1(VALU_DEP_4)
	v_dual_sub_f32 v36, v96, v28 :: v_dual_fmamk_f32 v35, v15, 0xbf5db3d7, v14
	v_dual_fmac_f32 v14, 0x3f5db3d7, v15 :: v_dual_add_f32 v15, v93, v29
	v_dual_fmac_f32 v16, v45, v39 :: v_dual_add_f32 v39, v67, v96
	v_dual_add_f32 v114, v32, v17 :: v_dual_fmac_f32 v67, -0.5, v31
	v_dual_sub_f32 v31, v97, v17 :: v_dual_fmamk_f32 v40, v36, 0x3f5db3d7, v70
	s_delay_alu instid0(VALU_DEP_4)
	v_fma_f32 v15, -0.5, v15, v13
	v_add_f32_e32 v13, v13, v93
	v_lshlrev_b32_e32 v45, 2, v49
	s_wait_alu 0xf1ff
	v_cndmask_b32_e64 v49, 0, 0x5a0, s0
	v_dual_fmamk_f32 v94, v31, 0xbf5db3d7, v67 :: v_dual_mul_f32 v97, 0xbf5db3d7, v40
	v_fmac_f32_e32 v70, 0xbf5db3d7, v36
	v_sub_f32_e32 v36, v30, v20
	v_dual_add_f32 v28, v39, v28 :: v_dual_add_f32 v39, v13, v29
	v_add_f32_e32 v17, v44, v54
	v_add3_u32 v49, 0, v49, v45
	v_fmac_f32_e32 v97, 0.5, v94
	v_fmamk_f32 v45, v36, 0xbf5db3d7, v15
	v_fmac_f32_e32 v15, 0x3f5db3d7, v36
	v_add_f32_e32 v36, v39, v28
	v_sub_f32_e32 v28, v39, v28
	v_add_f32_e32 v17, v17, v72
	v_and_b32_e32 v39, 0xffff, v51
	v_fmac_f32_e32 v67, 0x3f5db3d7, v31
	v_mul_f32_e32 v31, 0xbf5db3d7, v70
	v_add_f32_e32 v103, v45, v97
	v_sub_f32_e32 v45, v45, v97
	v_dual_mul_f32 v97, 0xbf5db3d7, v98 :: v_dual_mul_f32 v22, 0xbf5db3d7, v64
	v_mul_u32_u24_e32 v37, 0x5a0, v39
	v_lshlrev_b32_e32 v39, 2, v86
	v_fmac_f32_e32 v31, -0.5, v67
	s_delay_alu instid0(VALU_DEP_4) | instskip(SKIP_1) | instid1(VALU_DEP_4)
	v_dual_fmac_f32 v97, 0.5, v101 :: v_dual_fmac_f32 v22, -0.5, v60
	v_mul_f32_e32 v115, 0.5, v40
	v_add3_u32 v105, 0, v37, v39
	s_delay_alu instid0(VALU_DEP_4)
	v_add_f32_e32 v51, v15, v31
	v_dual_sub_f32 v15, v15, v31 :: v_dual_add_nc_u32 v104, 0x200, v49
	v_add_f32_e32 v31, v33, v34
	v_dual_add_f32 v37, v35, v97 :: v_dual_add_f32 v38, v14, v22
	v_sub_f32_e32 v33, v33, v34
	v_sub_f32_e32 v22, v14, v22
	ds_load_2addr_b32 v[13:14], v42 offset1:96
	ds_load_2addr_b32 v[95:96], v75 offset0:64 offset1:160
	global_wb scope:SCOPE_SE
	s_wait_dscnt 0x0
	s_barrier_signal -1
	s_barrier_wait -1
	global_inv scope:SCOPE_SE
	ds_store_2addr_b32 v49, v36, v103 offset1:60
	ds_store_2addr_b32 v49, v51, v28 offset0:120 offset1:180
	ds_store_2addr_b32 v104, v45, v15 offset0:112 offset1:172
	ds_store_2addr_b32 v105, v31, v37 offset1:60
	ds_store_2addr_b32 v105, v38, v33 offset0:120 offset1:180
	v_fmac_f32_e32 v115, 0x3f5db3d7, v94
	v_sub_f32_e32 v15, v35, v97
	v_dual_mul_f32 v64, -0.5, v64 :: v_dual_add_nc_u32 v97, 0x200, v105
	v_add_f32_e32 v28, v24, v88
	v_dual_add_f32 v103, v65, v24 :: v_dual_add_f32 v34, v12, v66
	ds_store_2addr_b32 v97, v15, v22 offset0:112 offset1:172
	v_add_f32_e32 v22, v26, v90
	v_sub_f32_e32 v26, v26, v90
	v_add_f32_e32 v31, v66, v91
	v_dual_fmac_f32 v65, -0.5, v28 :: v_dual_sub_f32 v28, v27, v18
	s_delay_alu instid0(VALU_DEP_4) | instskip(SKIP_1) | instid1(VALU_DEP_4)
	v_fmac_f32_e32 v56, -0.5, v22
	v_sub_f32_e32 v22, v25, v21
	v_dual_fmac_f32 v12, -0.5, v31 :: v_dual_add_f32 v31, v25, v21
	s_delay_alu instid0(VALU_DEP_4)
	v_fmamk_f32 v106, v28, 0x3f5db3d7, v65
	v_dual_fmac_f32 v65, 0xbf5db3d7, v28 :: v_dual_sub_f32 v28, v71, v83
	v_add_f32_e32 v33, v27, v18
	v_add_f32_e32 v25, v53, v25
	v_fmac_f32_e32 v53, -0.5, v31
	v_fmamk_f32 v109, v22, 0x3f5db3d7, v56
	v_dual_fmac_f32 v56, 0xbf5db3d7, v22 :: v_dual_add_f32 v27, v61, v27
	v_dual_fmac_f32 v64, 0x3f5db3d7, v60 :: v_dual_fmac_f32 v61, -0.5, v33
	v_sub_f32_e32 v24, v24, v88
	v_fmamk_f32 v15, v28, 0xbf5db3d7, v12
	v_fmac_f32_e32 v12, 0x3f5db3d7, v28
	v_add_f32_e32 v28, v55, v84
	v_fmamk_f32 v110, v26, 0xbf5db3d7, v53
	v_fmac_f32_e32 v53, 0x3f5db3d7, v26
	v_dual_mul_f32 v26, 0xbf5db3d7, v56 :: v_dual_fmamk_f32 v107, v24, 0xbf5db3d7, v61
	v_fmac_f32_e32 v61, 0x3f5db3d7, v24
	v_mul_f32_e32 v24, 0xbf5db3d7, v65
	v_fma_f32 v28, -0.5, v28, v11
	v_add_f32_e32 v11, v11, v55
	v_sub_f32_e32 v31, v59, v85
	v_fmac_f32_e32 v26, -0.5, v53
	v_add_f32_e32 v21, v25, v21
	v_dual_mul_f32 v25, 0xbf5db3d7, v109 :: v_dual_mul_f32 v56, -0.5, v56
	v_dual_fmac_f32 v24, -0.5, v61 :: v_dual_add_f32 v11, v11, v84
	v_fmamk_f32 v22, v31, 0xbf5db3d7, v28
	v_sub_f32_e32 v55, v55, v84
	s_delay_alu instid0(VALU_DEP_4) | instskip(SKIP_2) | instid1(VALU_DEP_3)
	v_dual_fmac_f32 v56, 0x3f5db3d7, v53 :: v_dual_lshlrev_b32 v33, 2, v63
	v_dual_fmac_f32 v25, 0.5, v110 :: v_dual_fmac_f32 v28, 0x3f5db3d7, v31
	v_add_f32_e32 v31, v12, v24
	v_add3_u32 v9, 0, v9, v33
	v_add_f32_e32 v33, v11, v21
	s_delay_alu instid0(VALU_DEP_4)
	v_dual_add_f32 v35, v22, v25 :: v_dual_sub_f32 v12, v12, v24
	v_mul_f32_e32 v24, 0xbf5db3d7, v106
	v_sub_f32_e32 v22, v22, v25
	v_add_f32_e32 v18, v27, v18
	ds_store_2addr_b32 v9, v33, v35 offset1:60
	v_mul_u32_u24_e32 v25, 0x5a0, v43
	v_lshlrev_b32_e32 v27, 2, v58
	v_add_f32_e32 v33, v34, v91
	v_dual_fmac_f32 v24, 0.5, v107 :: v_dual_sub_f32 v11, v11, v21
	v_add_f32_e32 v21, v28, v26
	v_dual_sub_f32 v26, v28, v26 :: v_dual_add_nc_u32 v111, 0x200, v9
	v_add3_u32 v112, 0, v25, v27
	v_add_f32_e32 v25, v33, v18
	v_dual_add_f32 v27, v15, v24 :: v_dual_sub_f32 v18, v33, v18
	ds_store_2addr_b32 v9, v21, v11 offset0:120 offset1:180
	ds_store_2addr_b32 v111, v22, v26 offset0:112 offset1:172
	ds_store_2addr_b32 v112, v25, v27 offset1:60
	ds_store_2addr_b32 v112, v31, v18 offset0:120 offset1:180
	v_add_f32_e32 v21, v23, v16
	v_add_f32_e32 v22, v19, v102
	v_dual_add_f32 v28, v13, v30 :: v_dual_sub_f32 v15, v15, v24
	v_add_f32_e32 v24, v50, v23
	s_delay_alu instid0(VALU_DEP_4) | instskip(NEXT) | instid1(VALU_DEP_4)
	v_fmac_f32_e32 v50, -0.5, v21
	v_dual_fmac_f32 v52, -0.5, v22 :: v_dual_sub_f32 v21, v23, v16
	s_delay_alu instid0(VALU_DEP_4) | instskip(SKIP_2) | instid1(VALU_DEP_4)
	v_add_f32_e32 v11, v28, v20
	v_add_f32_e32 v18, v30, v20
	v_dual_add_f32 v20, v54, v72 :: v_dual_sub_f32 v19, v19, v102
	v_fmamk_f32 v117, v21, 0x3f5db3d7, v52
	v_fmac_f32_e32 v52, 0xbf5db3d7, v21
	v_mul_u32_u24_e32 v21, 0x5a0, v46
	s_delay_alu instid0(VALU_DEP_4) | instskip(SKIP_4) | instid1(VALU_DEP_4)
	v_fmac_f32_e32 v44, -0.5, v20
	v_sub_f32_e32 v20, v57, v69
	v_fmamk_f32 v118, v19, 0xbf5db3d7, v50
	v_fmac_f32_e32 v50, 0x3f5db3d7, v19
	v_mul_f32_e32 v19, 0xbf5db3d7, v117
	v_dual_fmamk_f32 v22, v20, 0xbf5db3d7, v44 :: v_dual_lshlrev_b32 v23, 2, v48
	v_fmac_f32_e32 v44, 0x3f5db3d7, v20
	v_mul_f32_e32 v20, 0xbf5db3d7, v52
	v_add_nc_u32_e32 v119, 0x200, v112
	v_mul_f32_e32 v52, -0.5, v52
	v_dual_add_f32 v16, v24, v16 :: v_dual_fmac_f32 v19, 0.5, v118
	s_delay_alu instid0(VALU_DEP_4)
	v_fmac_f32_e32 v20, -0.5, v50
	v_add3_u32 v48, 0, v21, v23
	ds_store_2addr_b32 v119, v15, v12 offset0:112 offset1:172
	v_fma_f32 v12, -0.5, v18, v13
	v_dual_fmac_f32 v52, 0x3f5db3d7, v50 :: v_dual_sub_f32 v113, v93, v29
	v_add_f32_e32 v24, v17, v16
	v_dual_sub_f32 v16, v17, v16 :: v_dual_add_f32 v17, v22, v19
	v_lshl_add_u32 v46, v5, 2, 0
	v_lshl_add_u32 v40, v2, 2, 0
	v_mul_f32_e32 v13, -0.5, v70
	v_add_f32_e32 v21, v44, v20
	v_dual_sub_f32 v19, v22, v19 :: v_dual_sub_f32 v20, v44, v20
	v_add_nc_u32_e32 v120, 0x200, v48
	v_lshl_add_u32 v43, v4, 2, 0
	v_fmamk_f32 v70, v113, 0x3f5db3d7, v12
	ds_store_2addr_b32 v48, v24, v17 offset1:60
	ds_store_2addr_b32 v48, v21, v16 offset0:120 offset1:180
	ds_store_2addr_b32 v120, v19, v20 offset0:112 offset1:172
	global_wb scope:SCOPE_SE
	s_wait_dscnt 0x0
	s_barrier_signal -1
	s_barrier_wait -1
	global_inv scope:SCOPE_SE
	v_add_nc_u32_e32 v39, 0x800, v46
	v_add_nc_u32_e32 v44, 0x80, v46
	ds_load_b32 v86, v42 offset:1920
	ds_load_b32 v51, v42 offset:3840
	ds_load_b32 v58, v43
	ds_load_b32 v63, v40
	;; [unrolled: 1-line block ×3, first 2 shown]
	ds_load_b32 v94, v42 offset:11136
	ds_load_2addr_b32 v[23:24], v42 offset1:96
	ds_load_2addr_b32 v[37:38], v47 offset0:32 offset1:128
	ds_load_2addr_b32 v[21:22], v75 offset0:64 offset1:160
	;; [unrolled: 1-line block ×7, first 2 shown]
	ds_load_2addr_stride64_b32 v[15:16], v44 offset0:13 offset1:16
	ds_load_2addr_b32 v[27:28], v76 offset0:96 offset1:192
	ds_load_2addr_b32 v[25:26], v80 offset0:32 offset1:128
	v_fmac_f32_e32 v12, 0xbf5db3d7, v113
	v_fmac_f32_e32 v13, 0x3f5db3d7, v67
	v_add_nc_u32_e32 v45, 0x1200, v46
	v_add_f32_e32 v67, v11, v114
	v_add_f32_e32 v113, v70, v115
	s_delay_alu instid0(VALU_DEP_4)
	v_dual_sub_f32 v11, v11, v114 :: v_dual_add_f32 v114, v12, v13
	ds_load_2addr_b32 v[19:20], v45 offset0:96 offset1:192
	global_wb scope:SCOPE_SE
	s_wait_dscnt 0x0
	s_barrier_signal -1
	s_barrier_wait -1
	global_inv scope:SCOPE_SE
	ds_store_2addr_b32 v49, v67, v113 offset1:60
	ds_store_2addr_b32 v49, v114, v11 offset0:120 offset1:180
	v_dual_add_f32 v11, v14, v68 :: v_dual_fmac_f32 v14, -0.5, v121
	v_sub_f32_e32 v49, v62, v89
	v_dual_sub_f32 v12, v12, v13 :: v_dual_add_f32 v13, v71, v83
	v_sub_f32_e32 v62, v70, v115
	s_delay_alu instid0(VALU_DEP_4) | instskip(NEXT) | instid1(VALU_DEP_4)
	v_add_f32_e32 v11, v11, v87
	v_fmamk_f32 v67, v49, 0x3f5db3d7, v14
	v_dual_fmac_f32 v14, 0xbf5db3d7, v49 :: v_dual_add_f32 v49, v96, v71
	v_dual_fmac_f32 v96, -0.5, v13 :: v_dual_sub_f32 v13, v66, v91
	ds_store_2addr_b32 v104, v62, v12 offset0:112 offset1:172
	v_add_f32_e32 v12, v14, v64
	v_sub_f32_e32 v14, v14, v64
	v_add_f32_e32 v64, v59, v85
	v_mul_f32_e32 v60, -0.5, v65
	v_fmamk_f32 v62, v13, 0x3f5db3d7, v96
	v_dual_fmac_f32 v96, 0xbf5db3d7, v13 :: v_dual_add_f32 v13, v95, v59
	s_delay_alu instid0(VALU_DEP_3) | instskip(SKIP_1) | instid1(VALU_DEP_3)
	v_dual_mul_f32 v59, 0.5, v98 :: v_dual_fmac_f32 v60, 0x3f5db3d7, v61
	v_fma_f32 v61, -0.5, v64, v95
	v_dual_add_f32 v64, v100, v92 :: v_dual_add_f32 v13, v13, v85
	s_delay_alu instid0(VALU_DEP_3) | instskip(NEXT) | instid1(VALU_DEP_3)
	v_dual_fmac_f32 v59, 0x3f5db3d7, v101 :: v_dual_add_f32 v68, v108, v90
	v_fmamk_f32 v70, v55, 0x3f5db3d7, v61
	s_delay_alu instid0(VALU_DEP_3) | instskip(SKIP_1) | instid1(VALU_DEP_4)
	v_add_f32_e32 v66, v11, v64
	v_sub_f32_e32 v11, v11, v64
	v_add_f32_e32 v64, v67, v59
	v_sub_f32_e32 v59, v67, v59
	v_mul_f32_e32 v67, 0.5, v109
	v_fmac_f32_e32 v61, 0xbf5db3d7, v55
	v_add_f32_e32 v53, v13, v68
	v_sub_f32_e32 v13, v13, v68
	v_add_f32_e32 v49, v49, v83
	s_delay_alu instid0(VALU_DEP_4) | instskip(SKIP_3) | instid1(VALU_DEP_4)
	v_dual_fmac_f32 v67, 0x3f5db3d7, v110 :: v_dual_add_f32 v68, v61, v56
	v_sub_f32_e32 v56, v61, v56
	v_add_f32_e32 v61, v57, v69
	v_add_f32_e32 v71, v103, v88
	;; [unrolled: 1-line block ×3, first 2 shown]
	v_dual_sub_f32 v67, v70, v67 :: v_dual_mul_f32 v70, 0.5, v106
	v_add_nc_u32_e32 v50, 0x2a0, v5
	v_add_f32_e32 v57, v99, v57
	v_dual_fmac_f32 v99, -0.5, v61 :: v_dual_sub_f32 v54, v54, v72
	s_delay_alu instid0(VALU_DEP_4)
	v_fmac_f32_e32 v70, 0x3f5db3d7, v107
	v_add_f32_e32 v61, v49, v71
	v_sub_f32_e32 v49, v49, v71
	ds_store_2addr_b32 v105, v66, v64 offset1:60
	ds_store_2addr_b32 v105, v12, v11 offset0:120 offset1:180
	ds_store_2addr_b32 v97, v59, v14 offset0:112 offset1:172
	ds_store_2addr_b32 v9, v53, v55 offset1:60
	ds_store_2addr_b32 v9, v68, v13 offset0:120 offset1:180
	v_lshlrev_b64_e32 v[11:12], 3, v[5:6]
	v_add_f32_e32 v71, v62, v70
	v_sub_f32_e32 v62, v62, v70
	v_mul_f32_e32 v70, 0.5, v117
	v_dual_add_f32 v57, v57, v69 :: v_dual_and_b32 v6, 0xffff, v50
	v_dual_add_f32 v69, v116, v102 :: v_dual_fmamk_f32 v72, v54, 0x3f5db3d7, v99
	s_delay_alu instid0(VALU_DEP_3) | instskip(SKIP_1) | instid1(VALU_DEP_4)
	v_fmac_f32_e32 v70, 0x3f5db3d7, v118
	v_fmac_f32_e32 v99, 0xbf5db3d7, v54
	v_mul_u32_u24_e32 v6, 0x2d83, v6
	v_add_f32_e32 v65, v96, v60
	v_sub_f32_e32 v60, v96, v60
	v_add_f32_e32 v54, v57, v69
	v_sub_f32_e32 v57, v57, v69
	;; [unrolled: 2-line block ×3, first 2 shown]
	v_add_f32_e32 v72, v99, v52
	v_add_co_u32 v13, s0, s4, v11
	v_sub_f32_e32 v52, v99, v52
	v_lshrrev_b32_e32 v6, 22, v6
	v_and_b32_e32 v9, 0xffff, v2
	v_add_nc_u32_e32 v66, 0x360, v5
	s_wait_alu 0xf1ff
	v_add_co_ci_u32_e64 v14, s0, s5, v12, s0
	ds_store_2addr_b32 v111, v67, v56 offset0:112 offset1:172
	ds_store_2addr_b32 v112, v61, v71 offset1:60
	ds_store_2addr_b32 v112, v65, v49 offset0:120 offset1:180
	ds_store_2addr_b32 v119, v62, v60 offset0:112 offset1:172
	ds_store_2addr_b32 v48, v54, v69 offset1:60
	ds_store_2addr_b32 v48, v72, v57 offset0:120 offset1:180
	ds_store_2addr_b32 v120, v70, v52 offset0:112 offset1:172
	v_add_nc_u32_e32 v48, 0xffffffb8, v5
	v_cmp_gt_u32_e64 s0, 0x48, v5
	v_mul_lo_u16 v49, 0x168, v6
	v_mul_u32_u24_e32 v54, 0x2d83, v9
	v_and_b32_e32 v55, 0xffff, v66
	v_add_nc_u32_e32 v70, 0x420, v5
	s_wait_alu 0xf1ff
	v_cndmask_b32_e64 v9, v48, v41, s0
	v_sub_nc_u16 v41, v50, v49
	v_lshrrev_b32_e32 v56, 22, v54
	v_mul_u32_u24_e32 v57, 0x2d83, v55
	global_wb scope:SCOPE_SE
	s_wait_dscnt 0x0
	v_lshlrev_b64_e32 v[48:49], 3, v[9:10]
	v_and_b32_e32 v72, 0xffff, v41
	v_mul_lo_u16 v41, 0x168, v56
	v_lshrrev_b32_e32 v56, 22, v57
	s_barrier_signal -1
	s_barrier_wait -1
	v_add_co_u32 v48, s0, s4, v48
	s_wait_alu 0xf1ff
	v_add_co_ci_u32_e64 v49, s0, s5, v49, s0
	v_lshlrev_b32_e32 v64, 3, v72
	v_sub_nc_u16 v67, v2, v41
	v_mul_lo_u16 v68, 0x168, v56
	global_inv scope:SCOPE_SE
	s_clause 0x4
	global_load_b64 v[52:53], v[13:14], off offset:2800
	global_load_b64 v[54:55], v[13:14], off offset:4336
	;; [unrolled: 1-line block ×5, first 2 shown]
	v_add_nc_u32_e32 v41, 0x3c0, v5
	global_load_b64 v[64:65], v64, s[4:5] offset:2800
	v_and_b32_e32 v85, 0xffff, v67
	v_sub_nc_u16 v71, v66, v68
	s_clause 0x1
	global_load_b64 v[66:67], v[48:49], off offset:2800
	global_load_b64 v[68:69], v[13:14], off offset:4528
	v_and_b32_e32 v49, 0xffff, v70
	v_and_b32_e32 v83, 0xffff, v41
	v_add_nc_u32_e32 v48, 0x4e0, v5
	v_and_b32_e32 v107, 0xffff, v71
	v_lshlrev_b32_e32 v84, 3, v85
	v_mul_u32_u24_e32 v49, 0x2d83, v49
	v_mul_u32_u24_e32 v71, 0x2d83, v83
	v_and_b32_e32 v83, 0xffff, v4
	v_and_b32_e32 v88, 0xffff, v48
	v_lshlrev_b32_e32 v87, 3, v107
	v_lshrrev_b32_e32 v108, 22, v49
	v_add_nc_u32_e32 v49, 0x540, v5
	v_lshrrev_b32_e32 v71, 22, v71
	v_mul_u32_u24_e32 v83, 0x2d83, v83
	v_mul_u32_u24_e32 v88, 0x2d83, v88
	v_mul_lo_u16 v89, 0x168, v108
	v_and_b32_e32 v90, 0xffff, v49
	v_mul_lo_u16 v71, 0x168, v71
	v_lshrrev_b32_e32 v83, 22, v83
	v_lshrrev_b32_e32 v88, 22, v88
	v_sub_nc_u16 v70, v70, v89
	v_mul_u32_u24_e32 v89, 0x2d83, v90
	v_sub_nc_u16 v71, v41, v71
	v_mul_lo_u16 v83, 0x168, v83
	v_mul_lo_u16 v88, 0x168, v88
	v_and_b32_e32 v110, 0xffff, v70
	v_lshrrev_b32_e32 v89, 22, v89
	v_and_b32_e32 v109, 0xffff, v71
	v_sub_nc_u16 v90, v4, v83
	v_sub_nc_u16 v92, v48, v88
	global_load_b64 v[70:71], v84, s[4:5] offset:2800
	v_mul_lo_u16 v96, 0x168, v89
	v_lshlrev_b32_e32 v91, 3, v109
	v_lshlrev_b32_e32 v95, 3, v110
	v_and_b32_e32 v111, 0xffff, v90
	v_and_b32_e32 v112, 0xffff, v92
	v_sub_nc_u16 v97, v49, v96
	v_cmp_lt_u32_e64 s0, 0x47, v5
	s_clause 0x2
	global_load_b64 v[89:90], v95, s[4:5] offset:2800
	global_load_b64 v[83:84], v87, s[4:5] offset:2800
	;; [unrolled: 1-line block ×3, first 2 shown]
	v_and_b32_e32 v113, 0xffff, v97
	v_lshlrev_b32_e32 v91, 3, v111
	v_lshlrev_b32_e32 v95, 3, v112
	s_clause 0x1
	global_load_b64 v[91:92], v91, s[4:5] offset:2800
	global_load_b64 v[95:96], v95, s[4:5] offset:2800
	v_lshlrev_b32_e32 v97, 3, v113
	v_lshlrev_b32_e32 v9, 2, v9
	v_mul_u32_u24_e32 v6, 0xb40, v6
	global_load_b64 v[97:98], v97, s[4:5] offset:2800
	ds_load_2addr_b32 v[99:100], v47 offset0:32 offset1:128
	ds_load_2addr_b32 v[101:102], v73 offset0:96 offset1:192
	;; [unrolled: 1-line block ×4, first 2 shown]
	s_wait_loadcnt_dscnt 0xe03
	v_mul_f32_e32 v114, v99, v53
	v_mul_f32_e32 v53, v37, v53
	s_wait_loadcnt 0xb
	v_mul_f32_e32 v115, v100, v60
	v_mul_f32_e32 v60, v38, v60
	s_wait_dscnt 0x2
	v_mul_f32_e32 v116, v101, v55
	v_fmac_f32_e32 v114, v37, v52
	v_fma_f32 v52, v99, v52, -v53
	v_fmac_f32_e32 v115, v38, v59
	v_fma_f32 v53, v100, v59, -v60
	v_mul_f32_e32 v55, v35, v55
	s_wait_loadcnt 0x8
	v_dual_fmac_f32 v116, v35, v54 :: v_dual_mul_f32 v59, v102, v67
	v_mul_f32_e32 v35, v36, v67
	ds_load_2addr_b32 v[37:38], v79 offset0:32 offset1:128
	s_wait_dscnt 0x2
	v_mul_f32_e32 v60, v103, v62
	v_fma_f32 v67, v101, v54, -v55
	v_fmac_f32_e32 v59, v36, v66
	v_fma_f32 v66, v102, v66, -v35
	v_mul_f32_e32 v54, v33, v62
	v_fmac_f32_e32 v60, v33, v61
	v_mul_f32_e32 v55, v104, v57
	v_mul_f32_e32 v33, v34, v57
	ds_load_2addr_b32 v[35:36], v76 offset0:96 offset1:192
	s_wait_loadcnt_dscnt 0x702
	v_mul_f32_e32 v57, v105, v69
	v_fma_f32 v61, v103, v61, -v54
	v_fmac_f32_e32 v55, v34, v56
	v_fma_f32 v62, v104, v56, -v33
	v_mul_f32_e32 v54, v31, v69
	v_dual_fmac_f32 v57, v31, v68 :: v_dual_mul_f32 v56, v106, v65
	v_mul_f32_e32 v31, v32, v65
	ds_load_2addr_b32 v[33:34], v80 offset0:32 offset1:128
	v_fma_f32 v65, v105, v68, -v54
	v_dual_sub_f32 v55, v86, v55 :: v_dual_fmac_f32 v56, v32, v64
	v_fma_f32 v64, v106, v64, -v31
	ds_load_b32 v31, v42 offset:11136
	v_sub_f32_e32 v57, v17, v57
	s_wait_loadcnt_dscnt 0x603
	v_mul_f32_e32 v54, v37, v71
	v_mul_f32_e32 v68, v29, v71
	v_lshl_add_u32 v99, v113, 2, 0
	v_fma_f32 v17, v17, 2.0, -v57
	s_delay_alu instid0(VALU_DEP_4) | instskip(NEXT) | instid1(VALU_DEP_4)
	v_fmac_f32_e32 v54, v29, v70
	v_fma_f32 v68, v37, v70, -v68
	s_wait_loadcnt_dscnt 0x402
	v_dual_mul_f32 v70, v36, v90 :: v_dual_mul_f32 v69, v38, v84
	v_mul_f32_e32 v29, v30, v84
	s_wait_loadcnt 0x3
	v_mul_f32_e32 v37, v35, v88
	v_mul_f32_e32 v32, v27, v88
	v_dual_fmac_f32 v70, v28, v89 :: v_dual_fmac_f32 v69, v30, v83
	v_fma_f32 v71, v38, v83, -v29
	s_delay_alu instid0(VALU_DEP_4) | instskip(NEXT) | instid1(VALU_DEP_4)
	v_fmac_f32_e32 v37, v27, v87
	v_fma_f32 v83, v35, v87, -v32
	v_mul_f32_e32 v27, v28, v90
	s_wait_loadcnt_dscnt 0x201
	v_mul_f32_e32 v35, v33, v92
	v_mul_f32_e32 v28, v25, v92
	s_wait_loadcnt 0x1
	v_mul_f32_e32 v38, v34, v96
	v_mul_f32_e32 v29, v26, v96
	v_fma_f32 v84, v36, v89, -v27
	v_fmac_f32_e32 v35, v25, v91
	v_fma_f32 v87, v33, v91, -v28
	s_wait_loadcnt_dscnt 0x0
	v_mul_f32_e32 v33, v31, v98
	v_mul_f32_e32 v25, v94, v98
	v_sub_f32_e32 v36, v23, v114
	v_sub_f32_e32 v96, v24, v115
	v_fmac_f32_e32 v38, v26, v95
	ds_load_b32 v88, v43
	ds_load_b32 v89, v40
	;; [unrolled: 1-line block ×3, first 2 shown]
	ds_load_b32 v91, v42 offset:1920
	ds_load_b32 v92, v42 offset:3840
	v_fma_f32 v95, v34, v95, -v29
	v_fmac_f32_e32 v33, v94, v97
	v_fma_f32 v94, v31, v97, -v25
	v_fma_f32 v34, v23, 2.0, -v36
	v_fma_f32 v97, v24, 2.0, -v96
	ds_load_2addr_b32 v[23:24], v42 offset1:96
	ds_load_2addr_b32 v[25:26], v75 offset0:64 offset1:160
	v_sub_f32_e32 v98, v21, v116
	ds_load_2addr_b32 v[27:28], v39 offset0:64 offset1:160
	ds_load_2addr_stride64_b32 v[29:30], v44 offset0:13 offset1:16
	ds_load_2addr_b32 v[31:32], v45 offset0:96 offset1:192
	global_wb scope:SCOPE_SE
	s_wait_dscnt 0x0
	s_barrier_signal -1
	s_barrier_wait -1
	v_fma_f32 v21, v21, 2.0, -v98
	global_inv scope:SCOPE_SE
	ds_store_2addr_b32 v42, v34, v97 offset1:96
	ds_store_2addr_b32 v75, v21, v36 offset0:64 offset1:232
	v_sub_f32_e32 v21, v22, v59
	s_wait_alu 0xf1ff
	v_cndmask_b32_e64 v34, 0, 0xb40, s0
	v_sub_f32_e32 v36, v93, v60
	v_fma_f32 v59, v86, 2.0, -v55
	v_add_nc_u32_e32 v60, 0xa00, v46
	v_fma_f32 v22, v22, 2.0, -v21
	v_add3_u32 v9, 0, v34, v9
	v_fma_f32 v34, v93, 2.0, -v36
	ds_store_2addr_b32 v82, v96, v98 offset0:72 offset1:168
	ds_store_b32 v9, v22
	ds_store_b32 v9, v21 offset:1440
	ds_store_2addr_b32 v60, v34, v59 offset0:104 offset1:200
	v_dual_sub_f32 v59, v23, v52 :: v_dual_add_nc_u32 v86, 0xe00, v46
	v_sub_f32_e32 v21, v18, v56
	ds_store_2addr_b32 v86, v17, v36 offset0:40 offset1:208
	ds_store_2addr_b32 v45, v55, v57 offset0:48 offset1:144
	v_fma_f32 v96, v23, 2.0, -v59
	v_lshlrev_b32_e32 v23, 2, v72
	v_fma_f32 v17, v18, 2.0, -v21
	v_sub_f32_e32 v93, v24, v53
	v_sub_f32_e32 v22, v16, v70
	v_lshlrev_b32_e32 v34, 2, v110
	v_add3_u32 v6, 0, v6, v23
	v_mul_u32_u24_e32 v23, 0xb40, v108
	v_sub_f32_e32 v36, v63, v54
	ds_store_b32 v6, v17
	ds_store_b32 v6, v21 offset:1440
	v_sub_f32_e32 v21, v58, v35
	v_sub_f32_e32 v67, v25, v67
	v_fma_f32 v97, v24, 2.0, -v93
	v_sub_f32_e32 v18, v15, v69
	v_dual_sub_f32 v24, v19, v38 :: v_dual_sub_f32 v33, v20, v33
	v_sub_f32_e32 v17, v51, v37
	v_fma_f32 v16, v16, 2.0, -v22
	v_add3_u32 v69, 0, v23, v34
	v_fma_f32 v23, v63, 2.0, -v36
	v_lshl_add_u32 v63, v85, 2, 0
	v_fma_f32 v35, v58, 2.0, -v21
	v_lshl_add_u32 v85, v111, 2, 0
	v_sub_f32_e32 v66, v26, v66
	v_fma_f32 v25, v25, 2.0, -v67
	v_fma_f32 v15, v15, 2.0, -v18
	v_fma_f32 v19, v19, 2.0, -v24
	v_lshl_add_u32 v70, v107, 2, 0
	v_lshl_add_u32 v98, v112, 2, 0
	v_fma_f32 v20, v20, 2.0, -v33
	v_fma_f32 v34, v51, 2.0, -v17
	v_lshl_add_u32 v72, v109, 2, 0
	ds_store_b32 v63, v23 offset:5760
	ds_store_b32 v63, v36 offset:7200
	;; [unrolled: 1-line block ×6, first 2 shown]
	ds_store_b32 v69, v16
	ds_store_b32 v69, v22 offset:1440
	ds_store_b32 v85, v35 offset:8640
	ds_store_b32 v85, v21 offset:10080
	ds_store_b32 v98, v19 offset:8640
	ds_store_b32 v98, v24 offset:10080
	ds_store_b32 v99, v20 offset:8640
	ds_store_b32 v99, v33 offset:10080
	global_wb scope:SCOPE_SE
	s_wait_dscnt 0x0
	s_barrier_signal -1
	s_barrier_wait -1
	global_inv scope:SCOPE_SE
	ds_load_2addr_b32 v[15:16], v42 offset1:96
	ds_load_2addr_b32 v[17:18], v47 offset0:32 offset1:128
	ds_load_2addr_b32 v[19:20], v75 offset0:64 offset1:160
	;; [unrolled: 1-line block ×3, first 2 shown]
	ds_load_b32 v100, v42 offset:1920
	ds_load_b32 v101, v42 offset:3840
	ds_load_b32 v102, v43
	ds_load_b32 v103, v40
	;; [unrolled: 1-line block ×3, first 2 shown]
	ds_load_b32 v105, v42 offset:11136
	ds_load_2addr_b32 v[23:24], v74 offset0:32 offset1:128
	ds_load_2addr_b32 v[33:34], v39 offset0:64 offset1:160
	;; [unrolled: 1-line block ×4, first 2 shown]
	ds_load_2addr_stride64_b32 v[51:52], v44 offset0:13 offset1:16
	ds_load_2addr_b32 v[53:54], v76 offset0:96 offset1:192
	ds_load_2addr_b32 v[55:56], v80 offset0:32 offset1:128
	;; [unrolled: 1-line block ×3, first 2 shown]
	global_wb scope:SCOPE_SE
	s_wait_dscnt 0x0
	s_barrier_signal -1
	s_barrier_wait -1
	global_inv scope:SCOPE_SE
	ds_store_2addr_b32 v42, v96, v97 offset1:96
	ds_store_2addr_b32 v82, v93, v67 offset0:72 offset1:168
	v_fma_f32 v26, v26, 2.0, -v66
	ds_store_2addr_b32 v75, v25, v59 offset0:64 offset1:232
	v_sub_f32_e32 v25, v90, v61
	v_sub_f32_e32 v59, v91, v62
	;; [unrolled: 1-line block ×3, first 2 shown]
	ds_store_b32 v9, v26
	ds_store_b32 v9, v66 offset:1440
	v_sub_f32_e32 v62, v28, v64
	v_fma_f32 v9, v90, 2.0, -v25
	v_fma_f32 v26, v91, 2.0, -v59
	v_sub_f32_e32 v64, v29, v71
	v_fma_f32 v27, v27, 2.0, -v61
	v_sub_f32_e32 v65, v30, v84
	ds_store_2addr_b32 v60, v9, v26 offset0:104 offset1:200
	ds_store_2addr_b32 v86, v27, v25 offset0:40 offset1:208
	v_fma_f32 v25, v29, 2.0, -v64
	v_sub_f32_e32 v29, v89, v68
	v_fma_f32 v9, v28, 2.0, -v62
	v_fma_f32 v26, v30, 2.0, -v65
	v_dual_sub_f32 v27, v31, v95 :: v_dual_sub_f32 v28, v32, v94
	v_sub_f32_e32 v30, v92, v83
	v_sub_f32_e32 v60, v88, v87
	v_fma_f32 v66, v89, 2.0, -v29
	s_delay_alu instid0(VALU_DEP_4)
	v_fma_f32 v31, v31, 2.0, -v27
	v_fma_f32 v32, v32, 2.0, -v28
	;; [unrolled: 1-line block ×4, first 2 shown]
	ds_store_2addr_b32 v45, v59, v61 offset0:48 offset1:144
	ds_store_b32 v6, v9
	ds_store_b32 v6, v62 offset:1440
	ds_store_b32 v63, v66 offset:5760
	;; [unrolled: 1-line block ×7, first 2 shown]
	ds_store_b32 v69, v26
	ds_store_b32 v69, v65 offset:1440
	ds_store_b32 v85, v68 offset:8640
	;; [unrolled: 1-line block ×7, first 2 shown]
	global_wb scope:SCOPE_SE
	s_wait_dscnt 0x0
	s_barrier_signal -1
	s_barrier_wait -1
	global_inv scope:SCOPE_SE
	s_clause 0x1
	global_load_b64 v[25:26], v[13:14], off offset:5680
	global_load_b64 v[27:28], v[13:14], off offset:6448
	v_lshlrev_b64_e32 v[6:7], 3, v[7:8]
	v_subrev_nc_u32_e32 v9, 48, v5
	v_cmp_gt_u32_e64 s0, 48, v5
	s_clause 0x1
	global_load_b64 v[29:30], v[13:14], off offset:7216
	global_load_b64 v[31:32], v[13:14], off offset:7984
	v_add_nc_u32_e32 v98, 0x2000, v46
	v_add_nc_u32_e32 v99, 0x2800, v46
	s_wait_alu 0xf1ff
	v_cndmask_b32_e64 v9, v9, v50, s0
	v_add_co_u32 v6, s0, s4, v6
	s_wait_alu 0xf1ff
	v_add_co_ci_u32_e64 v7, s0, s5, v7, s0
	s_clause 0x2
	global_load_b64 v[61:62], v[6:7], off offset:5680
	global_load_b64 v[63:64], v[13:14], off offset:9520
	;; [unrolled: 1-line block ×3, first 2 shown]
	v_lshlrev_b64_e32 v[59:60], 3, v[9:10]
	s_delay_alu instid0(VALU_DEP_1) | instskip(SKIP_1) | instid1(VALU_DEP_2)
	v_add_co_u32 v59, s0, s4, v59
	s_wait_alu 0xf1ff
	v_add_co_ci_u32_e64 v60, s0, s5, v60, s0
	s_clause 0x7
	global_load_b64 v[59:60], v[59:60], off offset:5680
	global_load_b64 v[67:68], v[13:14], off offset:6832
	global_load_b64 v[69:70], v[13:14], off offset:6064
	global_load_b64 v[71:72], v[13:14], off offset:8368
	global_load_b64 v[82:83], v[13:14], off offset:7600
	global_load_b64 v[84:85], v[13:14], off offset:9904
	global_load_b64 v[86:87], v[13:14], off offset:9136
	global_load_b64 v[88:89], v[13:14], off offset:10672
	ds_load_2addr_b32 v[90:91], v47 offset0:32 offset1:128
	ds_load_2addr_b32 v[92:93], v73 offset0:96 offset1:192
	;; [unrolled: 1-line block ×4, first 2 shown]
	v_cmp_lt_u32_e64 s0, 47, v5
	s_wait_alu 0xf1ff
	s_delay_alu instid0(VALU_DEP_1)
	v_cndmask_b32_e64 v5, 0, 0x1680, s0
	s_wait_loadcnt_dscnt 0xe03
	v_mul_f32_e32 v8, v90, v26
	s_wait_loadcnt 0xd
	v_mul_f32_e32 v50, v91, v28
	v_mul_f32_e32 v26, v17, v26
	;; [unrolled: 1-line block ×3, first 2 shown]
	v_fmac_f32_e32 v8, v17, v25
	s_delay_alu instid0(VALU_DEP_4)
	v_fmac_f32_e32 v50, v18, v27
	ds_load_2addr_b32 v[17:18], v79 offset0:32 offset1:128
	v_fma_f32 v25, v90, v25, -v26
	s_wait_loadcnt_dscnt 0xc03
	v_mul_f32_e32 v26, v92, v30
	v_mul_f32_e32 v30, v21, v30
	s_wait_loadcnt 0xb
	v_mul_f32_e32 v90, v93, v32
	v_mul_f32_e32 v32, v22, v32
	v_fma_f32 v27, v91, v27, -v28
	v_fmac_f32_e32 v26, v21, v29
	v_fma_f32 v91, v92, v29, -v30
	v_fmac_f32_e32 v90, v22, v31
	s_wait_loadcnt_dscnt 0xa02
	v_mul_f32_e32 v28, v94, v62
	s_wait_loadcnt 0x9
	v_mul_f32_e32 v30, v95, v64
	ds_load_2addr_b32 v[21:22], v76 offset0:96 offset1:192
	v_fma_f32 v92, v93, v31, -v32
	v_mul_f32_e32 v29, v23, v62
	v_mul_f32_e32 v31, v24, v64
	s_wait_loadcnt_dscnt 0x802
	v_mul_f32_e32 v32, v96, v66
	v_fmac_f32_e32 v28, v23, v61
	v_fmac_f32_e32 v30, v24, v63
	ds_load_2addr_b32 v[23:24], v80 offset0:32 offset1:128
	v_fma_f32 v93, v94, v61, -v29
	v_fma_f32 v94, v95, v63, -v31
	v_fmac_f32_e32 v32, v35, v65
	v_mul_f32_e32 v29, v35, v66
	s_wait_loadcnt 0x7
	v_mul_f32_e32 v31, v97, v60
	v_mul_f32_e32 v35, v36, v60
	s_wait_loadcnt_dscnt 0x502
	v_mul_f32_e32 v95, v17, v70
	v_mul_f32_e32 v60, v37, v70
	v_fma_f32 v70, v96, v65, -v29
	v_mul_f32_e32 v29, v38, v68
	v_fmac_f32_e32 v31, v36, v59
	v_fmac_f32_e32 v95, v37, v69
	v_fma_f32 v69, v17, v69, -v60
	v_mul_f32_e32 v17, v18, v68
	s_wait_loadcnt 0x3
	v_mul_f32_e32 v37, v53, v83
	v_fma_f32 v96, v97, v59, -v35
	s_wait_dscnt 0x1
	v_mul_f32_e32 v35, v21, v83
	ds_load_b32 v36, v42 offset:11136
	v_fmac_f32_e32 v17, v38, v67
	v_fma_f32 v67, v18, v67, -v29
	v_mul_f32_e32 v18, v22, v72
	v_fma_f32 v68, v21, v82, -v37
	v_mul_f32_e32 v21, v54, v72
	ds_load_b32 v72, v43
	s_wait_loadcnt_dscnt 0x102
	v_mul_f32_e32 v29, v23, v87
	v_dual_fmac_f32 v18, v54, v71 :: v_dual_fmac_f32 v35, v53, v82
	v_fma_f32 v71, v22, v71, -v21
	v_mul_f32_e32 v21, v24, v85
	v_dual_mul_f32 v22, v56, v85 :: v_dual_mul_f32 v37, v55, v87
	ds_load_b32 v82, v40
	ds_load_b32 v83, v78
	v_fmac_f32_e32 v29, v55, v86
	ds_load_b32 v85, v42 offset:1920
	ds_load_b32 v87, v42 offset:3840
	v_fmac_f32_e32 v21, v56, v84
	ds_load_2addr_b32 v[55:56], v42 offset1:96
	v_fma_f32 v84, v24, v84, -v22
	v_sub_f32_e32 v8, v15, v8
	v_sub_f32_e32 v24, v16, v50
	v_fma_f32 v86, v23, v86, -v37
	s_wait_loadcnt_dscnt 0x6
	v_mul_f32_e32 v23, v36, v89
	ds_load_2addr_b32 v[59:60], v75 offset0:64 offset1:160
	v_fma_f32 v15, v15, 2.0, -v8
	v_fma_f32 v16, v16, 2.0, -v24
	ds_load_2addr_b32 v[61:62], v39 offset0:64 offset1:160
	ds_load_2addr_stride64_b32 v[63:64], v44 offset0:13 offset1:16
	ds_load_2addr_b32 v[65:66], v45 offset0:96 offset1:192
	global_wb scope:SCOPE_SE
	s_wait_dscnt 0x0
	s_barrier_signal -1
	s_barrier_wait -1
	global_inv scope:SCOPE_SE
	ds_store_2addr_b32 v42, v15, v16 offset1:96
	ds_store_2addr_b32 v81, v8, v24 offset0:80 offset1:176
	v_sub_f32_e32 v8, v19, v26
	v_sub_f32_e32 v15, v20, v90
	v_dual_fmac_f32 v23, v105, v88 :: v_dual_sub_f32 v26, v34, v31
	v_mul_f32_e32 v22, v105, v89
	s_delay_alu instid0(VALU_DEP_4) | instskip(NEXT) | instid1(VALU_DEP_4)
	v_fma_f32 v19, v19, 2.0, -v8
	v_fma_f32 v20, v20, 2.0, -v15
	v_dual_sub_f32 v16, v104, v28 :: v_dual_sub_f32 v89, v55, v25
	v_sub_f32_e32 v25, v33, v32
	v_fma_f32 v31, v34, 2.0, -v26
	v_sub_f32_e32 v34, v101, v35
	v_dual_sub_f32 v18, v52, v18 :: v_dual_sub_f32 v23, v58, v23
	v_dual_sub_f32 v24, v100, v30 :: v_dual_sub_f32 v29, v102, v29
	v_sub_f32_e32 v21, v57, v21
	ds_store_2addr_b32 v75, v19, v20 offset0:64 offset1:160
	ds_store_2addr_b32 v3, v8, v15 offset0:144 offset1:240
	v_lshlrev_b32_e32 v8, 2, v9
	v_sub_f32_e32 v90, v56, v27
	v_sub_f32_e32 v27, v103, v95
	;; [unrolled: 1-line block ×3, first 2 shown]
	v_fma_f32 v88, v36, v88, -v22
	v_fma_f32 v22, v104, 2.0, -v16
	v_fma_f32 v30, v33, 2.0, -v25
	;; [unrolled: 1-line block ×5, first 2 shown]
	v_add_nc_u32_e32 v58, 0x1800, v46
	v_add_nc_u32_e32 v95, 0x2600, v46
	v_fma_f32 v28, v100, 2.0, -v24
	v_fma_f32 v37, v102, 2.0, -v29
	v_fma_f32 v38, v57, 2.0, -v21
	v_add3_u32 v5, 0, v5, v8
	v_add_nc_u32_e32 v97, 0x1c00, v46
	v_fma_f32 v32, v103, 2.0, -v27
	v_fma_f32 v33, v51, 2.0, -v17
	v_add_nc_u32_e32 v9, 0x1600, v46
	ds_store_b32 v78, v22
	ds_store_b32 v78, v16 offset:2880
	ds_store_b32 v42, v28 offset:1920
	;; [unrolled: 1-line block ×3, first 2 shown]
	v_add_nc_u32_e32 v57, 0x2400, v46
	ds_store_b32 v46, v30 offset:2304
	ds_store_b32 v46, v25 offset:5184
	ds_store_b32 v5, v31
	ds_store_b32 v5, v26 offset:2880
	ds_store_2addr_b32 v9, v32, v33 offset0:80 offset1:176
	ds_store_2addr_b32 v57, v17, v34 offset1:96
	ds_store_2addr_b32 v58, v35, v36 offset0:144 offset1:240
	ds_store_2addr_b32 v95, v18, v29 offset0:64 offset1:160
	;; [unrolled: 1-line block ×5, first 2 shown]
	global_wb scope:SCOPE_SE
	s_wait_dscnt 0x0
	s_barrier_signal -1
	s_barrier_wait -1
	global_inv scope:SCOPE_SE
	ds_load_2addr_b32 v[19:20], v42 offset1:96
	ds_load_2addr_b32 v[31:32], v47 offset0:32 offset1:128
	ds_load_2addr_b32 v[21:22], v75 offset0:64 offset1:160
	;; [unrolled: 1-line block ×7, first 2 shown]
	ds_load_b32 v52, v42 offset:1920
	ds_load_b32 v53, v42 offset:3840
	ds_load_b32 v51, v43
	ds_load_b32 v50, v40
	;; [unrolled: 1-line block ×3, first 2 shown]
	ds_load_b32 v54, v42 offset:11136
	ds_load_2addr_stride64_b32 v[27:28], v44 offset0:13 offset1:16
	ds_load_2addr_b32 v[37:38], v76 offset0:96 offset1:192
	ds_load_2addr_b32 v[23:24], v80 offset0:32 offset1:128
	ds_load_2addr_b32 v[29:30], v45 offset0:96 offset1:192
	v_dual_sub_f32 v91, v59, v91 :: v_dual_sub_f32 v92, v60, v92
	v_fma_f32 v55, v55, 2.0, -v89
	v_fma_f32 v56, v56, 2.0, -v90
	global_wb scope:SCOPE_SE
	s_wait_dscnt 0x0
	v_fma_f32 v59, v59, 2.0, -v91
	v_fma_f32 v60, v60, 2.0, -v92
	s_barrier_signal -1
	s_barrier_wait -1
	global_inv scope:SCOPE_SE
	v_sub_f32_e32 v93, v83, v93
	ds_store_2addr_b32 v81, v89, v90 offset0:80 offset1:176
	ds_store_2addr_b32 v3, v91, v92 offset0:144 offset1:240
	ds_store_2addr_b32 v42, v55, v56 offset1:96
	ds_store_2addr_b32 v75, v59, v60 offset0:64 offset1:160
	v_dual_sub_f32 v60, v82, v69 :: v_dual_sub_f32 v55, v85, v94
	v_sub_f32_e32 v56, v61, v70
	v_fma_f32 v3, v83, 2.0, -v93
	v_sub_f32_e32 v59, v62, v96
	v_sub_f32_e32 v67, v63, v67
	v_fma_f32 v70, v82, 2.0, -v60
	v_dual_sub_f32 v68, v87, v68 :: v_dual_sub_f32 v71, v64, v71
	v_dual_sub_f32 v81, v72, v86 :: v_dual_sub_f32 v82, v65, v84
	v_sub_f32_e32 v83, v66, v88
	v_fma_f32 v69, v85, 2.0, -v55
	v_fma_f32 v61, v61, 2.0, -v56
	;; [unrolled: 1-line block ×9, first 2 shown]
	ds_store_b32 v78, v3
	ds_store_b32 v78, v93 offset:2880
	ds_store_b32 v42, v69 offset:1920
	;; [unrolled: 1-line block ×5, first 2 shown]
	ds_store_b32 v5, v62
	ds_store_b32 v5, v59 offset:2880
	ds_store_2addr_b32 v9, v70, v63 offset0:80 offset1:176
	ds_store_2addr_b32 v57, v67, v68 offset1:96
	ds_store_2addr_b32 v58, v84, v64 offset0:144 offset1:240
	ds_store_2addr_b32 v95, v71, v81 offset0:64 offset1:160
	;; [unrolled: 1-line block ×5, first 2 shown]
	global_wb scope:SCOPE_SE
	s_wait_dscnt 0x0
	s_barrier_signal -1
	s_barrier_wait -1
	global_inv scope:SCOPE_SE
	s_and_saveexec_b32 s0, vcc_lo
	s_cbranch_execz .LBB0_15
; %bb.14:
	s_clause 0xb
	global_load_b64 v[55:56], v[13:14], off offset:22192
	global_load_b64 v[57:58], v[13:14], off offset:21424
	;; [unrolled: 1-line block ×12, first 2 shown]
	v_mov_b32_e32 v5, v10
	v_mov_b32_e32 v3, v10
	v_lshrrev_b32_e32 v9, 5, v41
	v_lshrrev_b32_e32 v49, 5, v49
	s_delay_alu instid0(VALU_DEP_4) | instskip(NEXT) | instid1(VALU_DEP_4)
	v_lshlrev_b64_e32 v[4:5], 3, v[4:5]
	v_lshlrev_b64_e32 v[2:3], 3, v[2:3]
	s_delay_alu instid0(VALU_DEP_4) | instskip(NEXT) | instid1(VALU_DEP_4)
	v_mul_hi_u32 v9, 0x5b05b06, v9
	v_mul_hi_u32 v49, 0x5b05b06, v49
	s_delay_alu instid0(VALU_DEP_4)
	v_add_co_u32 v4, vcc_lo, s4, v4
	s_wait_alu 0xfffd
	v_add_co_ci_u32_e32 v5, vcc_lo, s5, v5, vcc_lo
	v_add_co_u32 v2, vcc_lo, s4, v2
	s_wait_alu 0xfffd
	v_add_co_ci_u32_e32 v3, vcc_lo, s5, v3, vcc_lo
	s_clause 0x2
	global_load_b64 v[4:5], v[4:5], off offset:11440
	global_load_b64 v[2:3], v[2:3], off offset:11440
	;; [unrolled: 1-line block ×3, first 2 shown]
	ds_load_2addr_b32 v[45:46], v45 offset0:96 offset1:192
	ds_load_2addr_b32 v[85:86], v80 offset0:32 offset1:128
	ds_load_2addr_stride64_b32 v[87:88], v44 offset0:13 offset1:16
	ds_load_2addr_b32 v[89:90], v76 offset0:96 offset1:192
	ds_load_2addr_b32 v[79:80], v79 offset0:32 offset1:128
	;; [unrolled: 1-line block ×4, first 2 shown]
	ds_load_b32 v95, v43
	ds_load_b32 v96, v40
	;; [unrolled: 1-line block ×3, first 2 shown]
	ds_load_b32 v97, v42 offset:11136
	ds_load_b32 v98, v42 offset:3840
	;; [unrolled: 1-line block ×3, first 2 shown]
	ds_load_2addr_b32 v[39:40], v74 offset0:32 offset1:128
	ds_load_2addr_b32 v[43:44], v75 offset0:64 offset1:160
	v_lshrrev_b32_e32 v75, 5, v48
	ds_load_2addr_b32 v[73:74], v73 offset0:96 offset1:192
	ds_load_2addr_b32 v[41:42], v42 offset1:96
	ds_load_2addr_b32 v[47:48], v47 offset0:32 offset1:128
	v_mul_u32_u24_e32 v9, 0x5a0, v9
	v_add_co_u32 v93, vcc_lo, s8, v0
	v_mul_hi_u32 v75, 0x5b05b06, v75
	s_wait_alu 0xfffd
	v_add_co_ci_u32_e32 v94, vcc_lo, s9, v1, vcc_lo
	v_lshlrev_b64_e32 v[0:1], 3, v[9:10]
	v_add_co_u32 v11, vcc_lo, v93, v11
	s_wait_alu 0xfffd
	s_delay_alu instid0(VALU_DEP_3) | instskip(SKIP_1) | instid1(VALU_DEP_3)
	v_add_co_ci_u32_e32 v12, vcc_lo, v94, v12, vcc_lo
	v_mul_u32_u24_e32 v9, 0x5a0, v75
	v_add_co_u32 v0, vcc_lo, v11, v0
	s_wait_alu 0xfffd
	s_delay_alu instid0(VALU_DEP_3) | instskip(NEXT) | instid1(VALU_DEP_3)
	v_add_co_ci_u32_e32 v1, vcc_lo, v12, v1, vcc_lo
	v_lshlrev_b64_e32 v[93:94], 3, v[9:10]
	v_mul_u32_u24_e32 v9, 0x5a0, v49
	s_delay_alu instid0(VALU_DEP_1) | instskip(NEXT) | instid1(VALU_DEP_3)
	v_lshlrev_b64_e32 v[9:10], 3, v[9:10]
	v_add_co_u32 v93, vcc_lo, v11, v93
	s_wait_alu 0xfffd
	s_delay_alu instid0(VALU_DEP_4) | instskip(NEXT) | instid1(VALU_DEP_3)
	v_add_co_ci_u32_e32 v94, vcc_lo, v12, v94, vcc_lo
	v_add_co_u32 v9, vcc_lo, v11, v9
	s_wait_alu 0xfffd
	v_add_co_ci_u32_e32 v10, vcc_lo, v12, v10, vcc_lo
	s_wait_loadcnt 0xe
	v_mul_f32_e32 v49, v54, v56
	s_wait_loadcnt 0xc
	v_dual_mul_f32 v75, v24, v58 :: v_dual_mul_f32 v100, v38, v60
	s_wait_loadcnt_dscnt 0xb0e
	v_dual_mul_f32 v60, v90, v60 :: v_dual_mul_f32 v101, v37, v62
	v_mul_f32_e32 v62, v89, v62
	s_wait_loadcnt 0x9
	v_dual_mul_f32 v102, v18, v64 :: v_dual_mul_f32 v103, v36, v66
	s_wait_loadcnt_dscnt 0x50d
	v_dual_mul_f32 v64, v80, v64 :: v_dual_mul_f32 v107, v33, v82
	s_wait_dscnt 0xb
	v_mul_f32_e32 v66, v77, v66
	v_dual_mul_f32 v104, v35, v68 :: v_dual_mul_f32 v105, v16, v70
	s_wait_loadcnt 0x3
	v_dual_mul_f32 v68, v76, v68 :: v_dual_mul_f32 v109, v31, v14
	v_fmac_f32_e32 v60, v38, v59
	v_fma_f32 v38, v61, v89, -v101
	v_fmac_f32_e32 v62, v37, v61
	v_fmac_f32_e32 v64, v18, v63
	v_fma_f32 v18, v65, v77, -v103
	v_fmac_f32_e32 v66, v36, v65
	v_mul_f32_e32 v108, v32, v84
	s_wait_dscnt 0x2
	v_fma_f32 v61, v81, v73, -v107
	s_wait_dscnt 0x0
	v_fma_f32 v65, v13, v47, -v109
	v_mul_f32_e32 v56, v97, v56
	v_mul_f32_e32 v110, v47, v14
	v_fma_f32 v37, v63, v80, -v102
	v_sub_f32_e32 v47, v26, v66
	v_fma_f32 v63, v83, v48, -v108
	v_dual_sub_f32 v61, v43, v61 :: v_dual_mul_f32 v58, v86, v58
	v_sub_f32_e32 v65, v41, v65
	v_mul_f32_e32 v82, v73, v82
	v_fmac_f32_e32 v56, v54, v55
	v_mul_f32_e32 v70, v40, v70
	v_fma_f32 v40, v69, v40, -v105
	v_sub_f32_e32 v36, v98, v38
	v_sub_f32_e32 v38, v87, v37
	v_dual_sub_f32 v37, v27, v64 :: v_dual_fmac_f32 v82, v33, v81
	v_sub_f32_e32 v33, v28, v60
	v_dual_fmac_f32 v58, v24, v57 :: v_dual_sub_f32 v63, v42, v63
	v_mul_f32_e32 v106, v34, v72
	v_fma_f32 v14, v55, v97, -v49
	v_fma_f32 v49, v57, v86, -v75
	s_delay_alu instid0(VALU_DEP_4)
	v_dual_fmac_f32 v110, v31, v13 :: v_dual_sub_f32 v31, v29, v58
	v_sub_f32_e32 v57, v99, v40
	v_dual_sub_f32 v13, v30, v56 :: v_dual_fmac_f32 v70, v16, v69
	v_fma_f32 v16, v71, v74, -v106
	v_mul_f32_e32 v72, v74, v72
	v_fma_f32 v24, v59, v90, -v100
	v_fma_f32 v54, v67, v76, -v104
	v_mul_f32_e32 v84, v48, v84
	v_fmac_f32_e32 v68, v35, v67
	v_sub_f32_e32 v48, v92, v18
	s_wait_loadcnt 0x2
	v_dual_sub_f32 v59, v44, v16 :: v_dual_mul_f32 v16, v23, v5
	v_mul_f32_e32 v5, v85, v5
	s_wait_loadcnt 0x1
	v_mul_f32_e32 v18, v17, v3
	v_dual_sub_f32 v35, v53, v62 :: v_dual_fmac_f32 v72, v34, v71
	v_sub_f32_e32 v34, v88, v24
	v_mul_f32_e32 v24, v79, v3
	s_wait_loadcnt 0x0
	v_mul_f32_e32 v3, v15, v7
	v_dual_sub_f32 v55, v91, v54 :: v_dual_fmac_f32 v84, v32, v83
	v_mul_f32_e32 v40, v39, v7
	v_fma_f32 v7, v4, v85, -v16
	v_fmac_f32_e32 v5, v23, v4
	v_fma_f32 v4, v2, v79, -v18
	v_fma_f32 v16, v6, v39, -v3
	v_sub_f32_e32 v62, v20, v84
	v_sub_f32_e32 v64, v19, v110
	v_fmac_f32_e32 v24, v17, v2
	v_fmac_f32_e32 v40, v15, v6
	v_dual_sub_f32 v2, v51, v5 :: v_dual_sub_f32 v5, v96, v4
	v_dual_sub_f32 v58, v22, v72 :: v_dual_sub_f32 v3, v95, v7
	;; [unrolled: 1-line block ×3, first 2 shown]
	v_sub_f32_e32 v14, v46, v14
	v_sub_f32_e32 v32, v45, v49
	v_sub_f32_e32 v54, v25, v68
	v_sub_f32_e32 v56, v52, v70
	v_fma_f32 v72, v22, 2.0, -v58
	v_fma_f32 v22, v43, 2.0, -v61
	v_fma_f32 v43, v42, 2.0, -v63
	v_fma_f32 v42, v20, 2.0, -v62
	v_fma_f32 v20, v41, 2.0, -v65
	v_fma_f32 v19, v19, 2.0, -v64
	v_sub_f32_e32 v4, v50, v24
	v_sub_f32_e32 v6, v8, v40
	v_fma_f32 v21, v21, 2.0, -v60
	v_fma_f32 v73, v44, 2.0, -v59
	;; [unrolled: 1-line block ×18, first 2 shown]
	s_clause 0x7
	global_store_b64 v[11:12], v[64:65], off offset:11520
	global_store_b64 v[11:12], v[62:63], off offset:12288
	;; [unrolled: 1-line block ×4, first 2 shown]
	global_store_b64 v[11:12], v[19:20], off
	global_store_b64 v[11:12], v[42:43], off offset:768
	global_store_b64 v[11:12], v[21:22], off offset:1536
	;; [unrolled: 1-line block ×3, first 2 shown]
	v_fma_f32 v16, v95, 2.0, -v3
	v_fma_f32 v15, v51, 2.0, -v2
	;; [unrolled: 1-line block ×6, first 2 shown]
	s_clause 0x15
	global_store_b64 v[11:12], v[6:7], off offset:14592
	global_store_b64 v[11:12], v[56:57], off offset:15360
	;; [unrolled: 1-line block ×22, first 2 shown]
.LBB0_15:
	s_nop 0
	s_sendmsg sendmsg(MSG_DEALLOC_VGPRS)
	s_endpgm
	.section	.rodata,"a",@progbits
	.p2align	6, 0x0
	.amdhsa_kernel fft_rtc_back_len2880_factors_10_6_6_2_2_2_wgs_96_tpt_96_halfLds_sp_ip_CI_unitstride_sbrr_dirReg
		.amdhsa_group_segment_fixed_size 0
		.amdhsa_private_segment_fixed_size 0
		.amdhsa_kernarg_size 88
		.amdhsa_user_sgpr_count 2
		.amdhsa_user_sgpr_dispatch_ptr 0
		.amdhsa_user_sgpr_queue_ptr 0
		.amdhsa_user_sgpr_kernarg_segment_ptr 1
		.amdhsa_user_sgpr_dispatch_id 0
		.amdhsa_user_sgpr_private_segment_size 0
		.amdhsa_wavefront_size32 1
		.amdhsa_uses_dynamic_stack 0
		.amdhsa_enable_private_segment 0
		.amdhsa_system_sgpr_workgroup_id_x 1
		.amdhsa_system_sgpr_workgroup_id_y 0
		.amdhsa_system_sgpr_workgroup_id_z 0
		.amdhsa_system_sgpr_workgroup_info 0
		.amdhsa_system_vgpr_workitem_id 0
		.amdhsa_next_free_vgpr 139
		.amdhsa_next_free_sgpr 32
		.amdhsa_reserve_vcc 1
		.amdhsa_float_round_mode_32 0
		.amdhsa_float_round_mode_16_64 0
		.amdhsa_float_denorm_mode_32 3
		.amdhsa_float_denorm_mode_16_64 3
		.amdhsa_fp16_overflow 0
		.amdhsa_workgroup_processor_mode 1
		.amdhsa_memory_ordered 1
		.amdhsa_forward_progress 0
		.amdhsa_round_robin_scheduling 0
		.amdhsa_exception_fp_ieee_invalid_op 0
		.amdhsa_exception_fp_denorm_src 0
		.amdhsa_exception_fp_ieee_div_zero 0
		.amdhsa_exception_fp_ieee_overflow 0
		.amdhsa_exception_fp_ieee_underflow 0
		.amdhsa_exception_fp_ieee_inexact 0
		.amdhsa_exception_int_div_zero 0
	.end_amdhsa_kernel
	.text
.Lfunc_end0:
	.size	fft_rtc_back_len2880_factors_10_6_6_2_2_2_wgs_96_tpt_96_halfLds_sp_ip_CI_unitstride_sbrr_dirReg, .Lfunc_end0-fft_rtc_back_len2880_factors_10_6_6_2_2_2_wgs_96_tpt_96_halfLds_sp_ip_CI_unitstride_sbrr_dirReg
                                        ; -- End function
	.section	.AMDGPU.csdata,"",@progbits
; Kernel info:
; codeLenInByte = 17432
; NumSgprs: 34
; NumVgprs: 139
; ScratchSize: 0
; MemoryBound: 0
; FloatMode: 240
; IeeeMode: 1
; LDSByteSize: 0 bytes/workgroup (compile time only)
; SGPRBlocks: 4
; VGPRBlocks: 17
; NumSGPRsForWavesPerEU: 34
; NumVGPRsForWavesPerEU: 139
; Occupancy: 10
; WaveLimiterHint : 1
; COMPUTE_PGM_RSRC2:SCRATCH_EN: 0
; COMPUTE_PGM_RSRC2:USER_SGPR: 2
; COMPUTE_PGM_RSRC2:TRAP_HANDLER: 0
; COMPUTE_PGM_RSRC2:TGID_X_EN: 1
; COMPUTE_PGM_RSRC2:TGID_Y_EN: 0
; COMPUTE_PGM_RSRC2:TGID_Z_EN: 0
; COMPUTE_PGM_RSRC2:TIDIG_COMP_CNT: 0
	.text
	.p2alignl 7, 3214868480
	.fill 96, 4, 3214868480
	.type	__hip_cuid_be55d2e69f927349,@object ; @__hip_cuid_be55d2e69f927349
	.section	.bss,"aw",@nobits
	.globl	__hip_cuid_be55d2e69f927349
__hip_cuid_be55d2e69f927349:
	.byte	0                               ; 0x0
	.size	__hip_cuid_be55d2e69f927349, 1

	.ident	"AMD clang version 19.0.0git (https://github.com/RadeonOpenCompute/llvm-project roc-6.4.0 25133 c7fe45cf4b819c5991fe208aaa96edf142730f1d)"
	.section	".note.GNU-stack","",@progbits
	.addrsig
	.addrsig_sym __hip_cuid_be55d2e69f927349
	.amdgpu_metadata
---
amdhsa.kernels:
  - .args:
      - .actual_access:  read_only
        .address_space:  global
        .offset:         0
        .size:           8
        .value_kind:     global_buffer
      - .offset:         8
        .size:           8
        .value_kind:     by_value
      - .actual_access:  read_only
        .address_space:  global
        .offset:         16
        .size:           8
        .value_kind:     global_buffer
      - .actual_access:  read_only
        .address_space:  global
        .offset:         24
        .size:           8
        .value_kind:     global_buffer
      - .offset:         32
        .size:           8
        .value_kind:     by_value
      - .actual_access:  read_only
        .address_space:  global
        .offset:         40
        .size:           8
        .value_kind:     global_buffer
      - .actual_access:  read_only
        .address_space:  global
        .offset:         48
        .size:           8
        .value_kind:     global_buffer
      - .offset:         56
        .size:           4
        .value_kind:     by_value
      - .actual_access:  read_only
        .address_space:  global
        .offset:         64
        .size:           8
        .value_kind:     global_buffer
      - .actual_access:  read_only
        .address_space:  global
        .offset:         72
        .size:           8
        .value_kind:     global_buffer
      - .address_space:  global
        .offset:         80
        .size:           8
        .value_kind:     global_buffer
    .group_segment_fixed_size: 0
    .kernarg_segment_align: 8
    .kernarg_segment_size: 88
    .language:       OpenCL C
    .language_version:
      - 2
      - 0
    .max_flat_workgroup_size: 96
    .name:           fft_rtc_back_len2880_factors_10_6_6_2_2_2_wgs_96_tpt_96_halfLds_sp_ip_CI_unitstride_sbrr_dirReg
    .private_segment_fixed_size: 0
    .sgpr_count:     34
    .sgpr_spill_count: 0
    .symbol:         fft_rtc_back_len2880_factors_10_6_6_2_2_2_wgs_96_tpt_96_halfLds_sp_ip_CI_unitstride_sbrr_dirReg.kd
    .uniform_work_group_size: 1
    .uses_dynamic_stack: false
    .vgpr_count:     139
    .vgpr_spill_count: 0
    .wavefront_size: 32
    .workgroup_processor_mode: 1
amdhsa.target:   amdgcn-amd-amdhsa--gfx1201
amdhsa.version:
  - 1
  - 2
...

	.end_amdgpu_metadata
